;; amdgpu-corpus repo=ROCm/rocFFT kind=compiled arch=gfx906 opt=O3
	.text
	.amdgcn_target "amdgcn-amd-amdhsa--gfx906"
	.amdhsa_code_object_version 6
	.protected	bluestein_single_back_len3888_dim1_dp_op_CI_CI ; -- Begin function bluestein_single_back_len3888_dim1_dp_op_CI_CI
	.globl	bluestein_single_back_len3888_dim1_dp_op_CI_CI
	.p2align	8
	.type	bluestein_single_back_len3888_dim1_dp_op_CI_CI,@function
bluestein_single_back_len3888_dim1_dp_op_CI_CI: ; @bluestein_single_back_len3888_dim1_dp_op_CI_CI
; %bb.0:
	s_mov_b64 s[26:27], s[2:3]
	v_mul_u32_u24_e32 v1, 0x195, v0
	s_mov_b64 s[24:25], s[0:1]
	v_lshrrev_b32_e32 v1, 17, v1
	s_add_u32 s24, s24, s7
	v_add_u32_e32 v3, s6, v1
	s_addc_u32 s25, s25, 0
	v_mov_b32_e32 v2, v3
	buffer_store_dword v2, off, s[24:27], 0 ; 4-byte Folded Spill
	s_nop 0
	buffer_store_dword v3, off, s[24:27], 0 offset:4 ; 4-byte Folded Spill
	s_load_dwordx4 s[0:3], s[4:5], 0x28
	v_mov_b32_e32 v4, 0
	s_waitcnt lgkmcnt(0)
	v_cmp_gt_u64_e32 vcc, s[0:1], v[3:4]
	s_and_saveexec_b64 s[0:1], vcc
	s_cbranch_execz .LBB0_15
; %bb.1:
	s_load_dwordx2 s[14:15], s[4:5], 0x0
	s_load_dwordx2 s[12:13], s[4:5], 0x38
	v_mul_lo_u16_e32 v1, 0x144, v1
	v_sub_u16_e32 v84, v0, v1
	s_movk_i32 s0, 0xf3
	v_cmp_gt_u16_e64 s[0:1], s0, v84
	v_lshlrev_b32_e32 v85, 4, v84
	s_and_saveexec_b64 s[6:7], s[0:1]
	s_cbranch_execz .LBB0_3
; %bb.2:
	s_load_dwordx2 s[8:9], s[4:5], 0x18
	v_mov_b32_e32 v117, v85
	s_waitcnt lgkmcnt(0)
	s_load_dwordx4 s[8:11], s[8:9], 0x0
	buffer_load_dword v0, off, s[24:27], 0  ; 4-byte Folded Reload
	buffer_load_dword v1, off, s[24:27], 0 offset:4 ; 4-byte Folded Reload
	s_waitcnt lgkmcnt(0)
	v_mad_u64_u32 v[2:3], s[16:17], s8, v84, 0
	s_waitcnt vmcnt(1)
	v_mov_b32_e32 v4, v0
	s_waitcnt vmcnt(0)
	v_mad_u64_u32 v[0:1], s[16:17], s10, v4, 0
	v_mad_u64_u32 v[4:5], s[10:11], s11, v4, v[1:2]
	;; [unrolled: 1-line block ×3, first 2 shown]
	v_mov_b32_e32 v1, v4
	v_lshlrev_b64 v[0:1], 4, v[0:1]
	v_mov_b32_e32 v3, v5
	v_mov_b32_e32 v6, s3
	v_lshlrev_b64 v[2:3], 4, v[2:3]
	v_add_co_u32_e32 v0, vcc, s2, v0
	v_addc_co_u32_e32 v1, vcc, v6, v1, vcc
	v_add_co_u32_e32 v16, vcc, v0, v2
	v_addc_co_u32_e32 v17, vcc, v1, v3, vcc
	v_mov_b32_e32 v0, s15
	v_add_co_u32_e32 v34, vcc, s14, v85
	s_mul_i32 s2, s9, 0xf30
	s_mul_hi_u32 s3, s8, 0xf30
	v_addc_co_u32_e32 v35, vcc, 0, v0, vcc
	s_add_i32 s2, s3, s2
	s_mul_i32 s3, s8, 0xf30
	v_mov_b32_e32 v4, s2
	v_add_co_u32_e32 v18, vcc, s3, v16
	v_addc_co_u32_e32 v19, vcc, v17, v4, vcc
	global_load_dwordx4 v[0:3], v85, s[14:15]
	global_load_dwordx4 v[4:7], v[16:17], off
	global_load_dwordx4 v[8:11], v[18:19], off
	global_load_dwordx4 v[12:15], v85, s[14:15] offset:3888
	v_mov_b32_e32 v16, s2
	v_add_co_u32_e32 v24, vcc, s3, v18
	v_addc_co_u32_e32 v25, vcc, v19, v16, vcc
	s_movk_i32 s8, 0x1000
	v_add_co_u32_e32 v20, vcc, s8, v34
	v_addc_co_u32_e32 v21, vcc, 0, v35, vcc
	v_mov_b32_e32 v26, s2
	v_add_co_u32_e32 v32, vcc, s3, v24
	v_addc_co_u32_e32 v33, vcc, v25, v26, vcc
	s_movk_i32 s8, 0x2000
	global_load_dwordx4 v[16:19], v[24:25], off
	v_add_co_u32_e32 v36, vcc, s8, v34
	global_load_dwordx4 v[20:23], v[20:21], off offset:3680
	v_addc_co_u32_e32 v37, vcc, 0, v35, vcc
	global_load_dwordx4 v[24:27], v[36:37], off offset:3472
	global_load_dwordx4 v[28:31], v[32:33], off
	s_movk_i32 s8, 0x3000
	v_add_co_u32_e32 v48, vcc, s8, v34
	s_movk_i32 s9, 0x4000
	v_addc_co_u32_e32 v49, vcc, 0, v35, vcc
	v_add_co_u32_e32 v50, vcc, s9, v34
	s_mov_b32 s10, 0xe000
	v_addc_co_u32_e32 v51, vcc, 0, v35, vcc
	v_add_co_u32_e32 v52, vcc, s10, v34
	v_addc_co_u32_e32 v53, vcc, 0, v35, vcc
	global_load_dwordx4 v[36:39], v[48:49], off offset:3264
	global_load_dwordx4 v[40:43], v[50:51], off offset:3056
	;; [unrolled: 1-line block ×3, first 2 shown]
	v_mov_b32_e32 v48, s2
	v_add_co_u32_e32 v32, vcc, s3, v32
	v_addc_co_u32_e32 v33, vcc, v33, v48, vcc
	v_mov_b32_e32 v52, s2
	global_load_dwordx4 v[48:51], v[32:33], off
	v_add_co_u32_e32 v32, vcc, s3, v32
	v_addc_co_u32_e32 v33, vcc, v33, v52, vcc
	v_mov_b32_e32 v66, s2
	s_movk_i32 s8, 0x5000
	global_load_dwordx4 v[52:55], v[32:33], off
	v_mov_b32_e32 v72, s2
	v_mov_b32_e32 v80, s2
	;; [unrolled: 1-line block ×5, first 2 shown]
	s_waitcnt vmcnt(11)
	v_mul_f64 v[56:57], v[6:7], v[2:3]
	v_mul_f64 v[58:59], v[4:5], v[2:3]
	s_waitcnt vmcnt(9)
	v_mul_f64 v[60:61], v[10:11], v[14:15]
	v_mul_f64 v[14:15], v[8:9], v[14:15]
	v_fma_f64 v[2:3], v[4:5], v[0:1], v[56:57]
	v_fma_f64 v[4:5], v[6:7], v[0:1], -v[58:59]
	v_add_co_u32_e32 v0, vcc, s3, v32
	v_addc_co_u32_e32 v1, vcc, v33, v66, vcc
	v_fma_f64 v[6:7], v[8:9], v[12:13], v[60:61]
	v_fma_f64 v[8:9], v[10:11], v[12:13], -v[14:15]
	v_mov_b32_e32 v56, s2
	s_waitcnt vmcnt(7)
	v_mul_f64 v[62:63], v[18:19], v[22:23]
	v_mul_f64 v[22:23], v[16:17], v[22:23]
	s_waitcnt vmcnt(5)
	v_mul_f64 v[64:65], v[30:31], v[26:27]
	v_mul_f64 v[26:27], v[28:29], v[26:27]
	v_fma_f64 v[10:11], v[16:17], v[20:21], v[62:63]
	v_fma_f64 v[12:13], v[18:19], v[20:21], -v[22:23]
	v_add_co_u32_e32 v22, vcc, s8, v34
	v_addc_co_u32_e32 v23, vcc, 0, v35, vcc
	v_fma_f64 v[16:17], v[30:31], v[24:25], -v[26:27]
	global_load_dwordx4 v[18:21], v[0:1], off
	v_mov_b32_e32 v26, s2
	v_add_co_u32_e32 v0, vcc, s3, v0
	v_addc_co_u32_e32 v1, vcc, v1, v26, vcc
	s_movk_i32 s8, 0x6000
	v_add_co_u32_e32 v30, vcc, s8, v34
	v_addc_co_u32_e32 v31, vcc, 0, v35, vcc
	v_fma_f64 v[14:15], v[28:29], v[24:25], v[64:65]
	global_load_dwordx4 v[26:29], v[0:1], off
	v_add_co_u32_e32 v0, vcc, s3, v0
	v_addc_co_u32_e32 v1, vcc, v1, v56, vcc
	s_movk_i32 s8, 0x7000
	v_add_co_u32_e32 v60, vcc, s8, v34
	v_addc_co_u32_e32 v61, vcc, 0, v35, vcc
	global_load_dwordx4 v[56:59], v[0:1], off
	v_mov_b32_e32 v64, s2
	v_add_co_u32_e32 v0, vcc, s3, v0
	v_addc_co_u32_e32 v1, vcc, v1, v64, vcc
	s_mov_b32 s8, 0x8000
	v_add_co_u32_e32 v68, vcc, s8, v34
	v_addc_co_u32_e32 v69, vcc, 0, v35, vcc
	global_load_dwordx4 v[64:67], v[0:1], off
	v_add_co_u32_e32 v0, vcc, s3, v0
	v_addc_co_u32_e32 v1, vcc, v1, v72, vcc
	s_mov_b32 s8, 0x9000
	v_add_co_u32_e32 v76, vcc, s8, v34
	v_addc_co_u32_e32 v77, vcc, 0, v35, vcc
	global_load_dwordx4 v[72:75], v[0:1], off
	v_add_co_u32_e32 v0, vcc, s3, v0
	global_load_dwordx4 v[22:25], v[22:23], off offset:2848
	v_addc_co_u32_e32 v1, vcc, v1, v80, vcc
	global_load_dwordx4 v[30:33], v[30:31], off offset:2640
	s_mov_b32 s8, 0xa000
	v_add_co_u32_e32 v85, vcc, s8, v34
	v_addc_co_u32_e32 v86, vcc, 0, v35, vcc
	global_load_dwordx4 v[80:83], v[0:1], off
	v_add_co_u32_e32 v0, vcc, s3, v0
	v_addc_co_u32_e32 v1, vcc, v1, v89, vcc
	s_mov_b32 s8, 0xb000
	v_add_co_u32_e32 v93, vcc, s8, v34
	v_addc_co_u32_e32 v94, vcc, 0, v35, vcc
	global_load_dwordx4 v[89:92], v[0:1], off
	v_add_co_u32_e32 v0, vcc, s3, v0
	v_addc_co_u32_e32 v1, vcc, v1, v97, vcc
	s_mov_b32 s8, 0xc000
	v_add_co_u32_e32 v101, vcc, s8, v34
	global_load_dwordx4 v[60:63], v[60:61], off offset:2432
	v_addc_co_u32_e32 v102, vcc, 0, v35, vcc
	global_load_dwordx4 v[68:71], v[68:69], off offset:2224
	s_mov_b32 s8, 0xd000
	global_load_dwordx4 v[76:79], v[76:77], off offset:2016
	s_nop 0
	global_load_dwordx4 v[97:100], v[0:1], off
	v_add_co_u32_e32 v0, vcc, s3, v0
	v_addc_co_u32_e32 v1, vcc, v1, v105, vcc
	global_load_dwordx4 v[85:88], v[85:86], off offset:1808
	v_add_co_u32_e32 v34, vcc, s8, v34
	global_load_dwordx4 v[93:96], v[93:94], off offset:1600
	v_addc_co_u32_e32 v35, vcc, 0, v35, vcc
	global_load_dwordx4 v[101:104], v[101:102], off offset:1392
	s_nop 0
	global_load_dwordx4 v[105:108], v[0:1], off
	global_load_dwordx4 v[109:112], v[34:35], off offset:1184
	v_mov_b32_e32 v34, s2
	v_add_co_u32_e32 v0, vcc, s3, v0
	v_addc_co_u32_e32 v1, vcc, v1, v34, vcc
	global_load_dwordx4 v[113:116], v[0:1], off
	s_waitcnt vmcnt(20)
	v_mul_f64 v[0:1], v[50:51], v[38:39]
	v_mul_f64 v[38:39], v[48:49], v[38:39]
	v_fma_f64 v[34:35], v[48:49], v[36:37], v[0:1]
	s_waitcnt vmcnt(19)
	v_mul_f64 v[0:1], v[54:55], v[42:43]
	v_mul_f64 v[42:43], v[52:53], v[42:43]
	v_fma_f64 v[36:37], v[50:51], v[36:37], -v[38:39]
	v_fma_f64 v[38:39], v[52:53], v[40:41], v[0:1]
	v_fma_f64 v[40:41], v[54:55], v[40:41], -v[42:43]
	s_waitcnt vmcnt(13)
	v_mul_f64 v[0:1], v[20:21], v[24:25]
	v_mul_f64 v[24:25], v[18:19], v[24:25]
	s_waitcnt vmcnt(12)
	v_mul_f64 v[42:43], v[28:29], v[32:33]
	v_mul_f64 v[32:33], v[26:27], v[32:33]
	v_fma_f64 v[18:19], v[18:19], v[22:23], v[0:1]
	v_fma_f64 v[20:21], v[20:21], v[22:23], -v[24:25]
	v_fma_f64 v[22:23], v[26:27], v[30:31], v[42:43]
	v_fma_f64 v[24:25], v[28:29], v[30:31], -v[32:33]
	ds_write_b128 v117, v[2:5]
	ds_write_b128 v117, v[6:9] offset:3888
	ds_write_b128 v117, v[10:13] offset:7776
	;; [unrolled: 1-line block ×7, first 2 shown]
	s_waitcnt vmcnt(9)
	v_mul_f64 v[0:1], v[58:59], v[62:63]
	v_mul_f64 v[2:3], v[56:57], v[62:63]
	s_waitcnt vmcnt(8)
	v_mul_f64 v[4:5], v[66:67], v[70:71]
	v_mul_f64 v[6:7], v[64:65], v[70:71]
	;; [unrolled: 3-line block ×3, first 2 shown]
	v_fma_f64 v[0:1], v[56:57], v[60:61], v[0:1]
	v_fma_f64 v[2:3], v[58:59], v[60:61], -v[2:3]
	v_fma_f64 v[4:5], v[64:65], v[68:69], v[4:5]
	s_waitcnt vmcnt(5)
	v_mul_f64 v[12:13], v[82:83], v[87:88]
	v_mul_f64 v[14:15], v[80:81], v[87:88]
	v_fma_f64 v[6:7], v[66:67], v[68:69], -v[6:7]
	s_waitcnt vmcnt(4)
	v_mul_f64 v[16:17], v[91:92], v[95:96]
	v_mul_f64 v[18:19], v[89:90], v[95:96]
	v_fma_f64 v[8:9], v[72:73], v[76:77], v[8:9]
	s_waitcnt vmcnt(3)
	v_mul_f64 v[20:21], v[99:100], v[103:104]
	v_mul_f64 v[22:23], v[97:98], v[103:104]
	v_fma_f64 v[10:11], v[74:75], v[76:77], -v[10:11]
	s_waitcnt vmcnt(1)
	v_mul_f64 v[24:25], v[107:108], v[111:112]
	v_mul_f64 v[26:27], v[105:106], v[111:112]
	v_fma_f64 v[12:13], v[80:81], v[85:86], v[12:13]
	v_fma_f64 v[14:15], v[82:83], v[85:86], -v[14:15]
	v_fma_f64 v[16:17], v[89:90], v[93:94], v[16:17]
	v_fma_f64 v[18:19], v[91:92], v[93:94], -v[18:19]
	s_waitcnt vmcnt(0)
	v_mul_f64 v[28:29], v[115:116], v[46:47]
	v_mul_f64 v[30:31], v[113:114], v[46:47]
	v_fma_f64 v[20:21], v[97:98], v[101:102], v[20:21]
	v_fma_f64 v[22:23], v[99:100], v[101:102], -v[22:23]
	v_fma_f64 v[24:25], v[105:106], v[109:110], v[24:25]
	v_fma_f64 v[26:27], v[107:108], v[109:110], -v[26:27]
	v_mov_b32_e32 v85, v117
	v_fma_f64 v[28:29], v[113:114], v[44:45], v[28:29]
	v_fma_f64 v[30:31], v[115:116], v[44:45], -v[30:31]
	ds_write_b128 v117, v[0:3] offset:31104
	ds_write_b128 v117, v[4:7] offset:34992
	;; [unrolled: 1-line block ×8, first 2 shown]
.LBB0_3:
	s_or_b64 exec, exec, s[6:7]
	s_load_dwordx2 s[6:7], s[4:5], 0x20
	s_load_dwordx2 s[2:3], s[4:5], 0x8
	s_waitcnt vmcnt(0) lgkmcnt(0)
	s_barrier
	s_waitcnt lgkmcnt(0)
                                        ; implicit-def: $vgpr56_vgpr57
                                        ; implicit-def: $vgpr16_vgpr17
                                        ; implicit-def: $vgpr28_vgpr29
                                        ; implicit-def: $vgpr48_vgpr49
                                        ; implicit-def: $vgpr60_vgpr61
                                        ; implicit-def: $vgpr44_vgpr45
                                        ; implicit-def: $vgpr52_vgpr53
                                        ; implicit-def: $vgpr32_vgpr33
                                        ; implicit-def: $vgpr40_vgpr41
                                        ; implicit-def: $vgpr36_vgpr37
                                        ; implicit-def: $vgpr24_vgpr25
                                        ; implicit-def: $vgpr12_vgpr13
                                        ; implicit-def: $vgpr20_vgpr21
                                        ; implicit-def: $vgpr4_vgpr5
                                        ; implicit-def: $vgpr8_vgpr9
                                        ; implicit-def: $vgpr0_vgpr1
	s_and_saveexec_b64 s[4:5], s[0:1]
	s_cbranch_execz .LBB0_5
; %bb.4:
	ds_read_b128 v[0:3], v85 offset:3888
	ds_read_b128 v[8:11], v85 offset:7776
	ds_read_b128 v[4:7], v85 offset:11664
	ds_read_b128 v[20:23], v85 offset:15552
	ds_read_b128 v[12:15], v85 offset:19440
	ds_read_b128 v[16:19], v85 offset:23328
	ds_read_b128 v[24:27], v85 offset:27216
	ds_read_b128 v[36:39], v85 offset:31104
	ds_read_b128 v[28:31], v85 offset:34992
	ds_read_b128 v[40:43], v85 offset:38880
	ds_read_b128 v[32:35], v85 offset:42768
	ds_read_b128 v[52:55], v85 offset:46656
	ds_read_b128 v[44:47], v85 offset:50544
	ds_read_b128 v[60:63], v85 offset:54432
	ds_read_b128 v[56:59], v85
	ds_read_b128 v[48:51], v85 offset:58320
.LBB0_5:
	s_or_b64 exec, exec, s[4:5]
	s_waitcnt lgkmcnt(1)
	v_add_f64 v[64:65], v[56:57], -v[36:37]
	v_add_f64 v[38:39], v[58:59], -v[38:39]
	;; [unrolled: 1-line block ×8, first 2 shown]
	v_fma_f64 v[56:57], v[56:57], 2.0, -v[64:65]
	v_fma_f64 v[58:59], v[58:59], 2.0, -v[38:39]
	;; [unrolled: 1-line block ×8, first 2 shown]
	v_add_f64 v[28:29], v[0:1], -v[28:29]
	v_add_f64 v[68:69], v[2:3], -v[30:31]
	;; [unrolled: 1-line block ×6, first 2 shown]
	s_waitcnt lgkmcnt(0)
	v_add_f64 v[32:33], v[24:25], -v[48:49]
	v_add_f64 v[48:49], v[26:27], -v[50:51]
	v_fma_f64 v[50:51], v[0:1], 2.0, -v[28:29]
	v_fma_f64 v[72:73], v[2:3], 2.0, -v[68:69]
	;; [unrolled: 1-line block ×8, first 2 shown]
	v_add_f64 v[2:3], v[56:57], -v[20:21]
	v_add_f64 v[24:25], v[58:59], -v[22:23]
	;; [unrolled: 1-line block ×3, first 2 shown]
	v_add_f64 v[36:37], v[38:39], v[36:37]
	v_add_f64 v[52:53], v[62:63], -v[10:11]
	v_add_f64 v[60:61], v[40:41], -v[60:61]
	v_add_f64 v[80:81], v[54:55], v[42:43]
	v_add_f64 v[16:17], v[66:67], -v[16:17]
	v_fma_f64 v[0:1], v[56:57], 2.0, -v[2:3]
	v_fma_f64 v[4:5], v[58:59], 2.0, -v[24:25]
	;; [unrolled: 1-line block ×7, first 2 shown]
	v_add_f64 v[22:23], v[50:51], -v[12:13]
	v_add_f64 v[34:35], v[72:73], -v[14:15]
	;; [unrolled: 1-line block ×3, first 2 shown]
	v_add_f64 v[44:45], v[18:19], v[68:69]
	v_add_f64 v[56:57], v[74:75], -v[76:77]
	v_add_f64 v[58:59], v[6:7], -v[78:79]
	v_add_f64 v[62:63], v[46:47], -v[48:49]
	v_add_f64 v[64:65], v[32:33], v[70:71]
	s_mov_b32 s8, 0x667f3bcd
	s_mov_b32 s9, 0xbfe6a09e
	;; [unrolled: 1-line block ×4, first 2 shown]
	v_fma_f64 v[54:55], v[66:67], 2.0, -v[16:17]
	v_fma_f64 v[12:13], v[50:51], 2.0, -v[22:23]
	;; [unrolled: 1-line block ×9, first 2 shown]
	v_fma_f64 v[14:15], v[40:41], s[8:9], v[10:11]
	v_fma_f64 v[46:47], v[42:43], s[8:9], v[20:21]
	v_add_f64 v[6:7], v[0:1], -v[38:39]
	v_fma_f64 v[38:39], v[60:61], s[10:11], v[8:9]
	v_fma_f64 v[70:71], v[80:81], s[10:11], v[36:37]
	v_add_f64 v[28:29], v[4:5], -v[54:55]
	v_add_f64 v[54:55], v[24:25], v[52:53]
	v_fma_f64 v[52:53], v[66:67], s[8:9], v[30:31]
	v_fma_f64 v[14:15], v[42:43], s[8:9], v[14:15]
	;; [unrolled: 1-line block ×7, first 2 shown]
	v_add_f64 v[40:41], v[18:19], -v[50:51]
	v_add_f64 v[38:39], v[12:13], -v[48:49]
	v_fma_f64 v[74:75], v[64:65], s[10:11], v[44:45]
	v_fma_f64 v[48:49], v[68:69], s[8:9], v[52:53]
	;; [unrolled: 1-line block ×3, first 2 shown]
	v_add_f64 v[50:51], v[22:23], -v[58:59]
	v_add_f64 v[58:59], v[56:57], v[34:35]
	v_fma_f64 v[56:57], v[64:65], s[8:9], v[70:71]
	v_add_f64 v[64:65], v[6:7], -v[40:41]
	v_add_f64 v[66:67], v[28:29], v[38:39]
	s_mov_b32 s16, 0xa6aea964
	buffer_store_dword v64, off, s[24:27], 0 offset:8 ; 4-byte Folded Spill
	s_nop 0
	buffer_store_dword v65, off, s[24:27], 0 offset:12 ; 4-byte Folded Spill
	buffer_store_dword v66, off, s[24:27], 0 offset:16 ; 4-byte Folded Spill
	;; [unrolled: 1-line block ×3, first 2 shown]
	s_mov_b32 s17, 0x3fd87de2
	v_fma_f64 v[64:65], v[48:49], s[16:17], v[14:15]
	v_fma_f64 v[66:67], v[52:53], s[16:17], v[42:43]
	v_add_f64 v[16:17], v[2:3], -v[16:17]
	s_mov_b32 s18, 0xcf328d46
	s_mov_b32 s19, 0xbfed906b
	;; [unrolled: 1-line block ×4, first 2 shown]
	v_fma_f64 v[70:71], v[58:59], s[10:11], v[54:55]
	v_fma_f64 v[64:65], v[52:53], s[18:19], v[64:65]
	;; [unrolled: 1-line block ×5, first 2 shown]
	buffer_store_dword v64, off, s[24:27], 0 offset:24 ; 4-byte Folded Spill
	s_nop 0
	buffer_store_dword v65, off, s[24:27], 0 offset:28 ; 4-byte Folded Spill
	buffer_store_dword v66, off, s[24:27], 0 offset:32 ; 4-byte Folded Spill
	;; [unrolled: 1-line block ×3, first 2 shown]
	v_fma_f64 v[64:65], v[58:59], s[8:9], v[68:69]
	v_fma_f64 v[66:67], v[50:51], s[10:11], v[70:71]
	;; [unrolled: 1-line block ×4, first 2 shown]
	buffer_store_dword v64, off, s[24:27], 0 offset:40 ; 4-byte Folded Spill
	s_nop 0
	buffer_store_dword v65, off, s[24:27], 0 offset:44 ; 4-byte Folded Spill
	buffer_store_dword v66, off, s[24:27], 0 offset:48 ; 4-byte Folded Spill
	;; [unrolled: 1-line block ×3, first 2 shown]
	s_mov_b32 s23, 0xbfd87de2
	s_mov_b32 s22, s16
	v_fma_f64 v[64:65], v[62:63], s[22:23], v[72:73]
	v_fma_f64 v[66:67], v[56:57], s[16:17], v[74:75]
	v_lshlrev_b16_e32 v102, 4, v84
	buffer_store_dword v64, off, s[24:27], 0 offset:56 ; 4-byte Folded Spill
	s_nop 0
	buffer_store_dword v65, off, s[24:27], 0 offset:60 ; 4-byte Folded Spill
	buffer_store_dword v66, off, s[24:27], 0 offset:64 ; 4-byte Folded Spill
	;; [unrolled: 1-line block ×3, first 2 shown]
	s_waitcnt vmcnt(0)
	s_barrier
	s_and_saveexec_b64 s[4:5], s[0:1]
	s_cbranch_execz .LBB0_7
; %bb.6:
	buffer_load_dword v86, off, s[24:27], 0 offset:56 ; 4-byte Folded Reload
	buffer_load_dword v87, off, s[24:27], 0 offset:60 ; 4-byte Folded Reload
	;; [unrolled: 1-line block ×16, first 2 shown]
	v_fma_f64 v[64:65], v[36:37], 2.0, -v[60:61]
	v_fma_f64 v[68:69], v[44:45], 2.0, -v[62:63]
	;; [unrolled: 1-line block ×8, first 2 shown]
	s_waitcnt vmcnt(12)
	v_fma_f64 v[62:63], v[60:61], 2.0, -v[88:89]
	s_waitcnt vmcnt(8)
	v_fma_f64 v[36:37], v[54:55], 2.0, -v[80:81]
	;; [unrolled: 2-line block ×3, first 2 shown]
	v_fma_f64 v[42:43], v[20:21], 2.0, -v[42:43]
	v_fma_f64 v[20:21], v[26:27], 2.0, -v[56:57]
	;; [unrolled: 1-line block ×9, first 2 shown]
	v_fma_f64 v[24:25], v[68:69], s[22:23], v[64:65]
	v_fma_f64 v[46:47], v[32:33], s[18:19], v[42:43]
	s_waitcnt vmcnt(0)
	v_fma_f64 v[66:67], v[28:29], 2.0, -v[72:73]
	v_fma_f64 v[38:39], v[20:21], s[22:23], v[26:27]
	v_fma_f64 v[12:13], v[22:23], s[18:19], v[30:31]
	;; [unrolled: 1-line block ×6, first 2 shown]
	v_add_f64 v[24:25], v[4:5], -v[18:19]
	v_add_f64 v[22:23], v[52:53], -v[0:1]
	v_fma_f64 v[18:19], v[32:33], s[22:23], v[12:13]
	v_fma_f64 v[10:11], v[8:9], s[10:11], v[10:11]
	;; [unrolled: 1-line block ×4, first 2 shown]
	v_fma_f64 v[28:29], v[64:65], 2.0, -v[2:3]
	v_fma_f64 v[40:41], v[42:43], 2.0, -v[20:21]
	;; [unrolled: 1-line block ×11, first 2 shown]
	v_lshlrev_b32_e32 v4, 4, v102
	ds_write_b128 v4, v[46:49]
	ds_write_b128 v4, v[38:41] offset:16
	ds_write_b128 v4, v[30:33] offset:32
	;; [unrolled: 1-line block ×15, first 2 shown]
.LBB0_7:
	s_or_b64 exec, exec, s[4:5]
	s_movk_i32 s8, 0x144
	v_and_b32_e32 v0, 15, v84
	v_add_co_u32_e32 v7, vcc, s8, v84
	v_lshlrev_b32_e32 v1, 5, v0
	s_load_dwordx4 s[4:7], s[6:7], 0x0
	s_waitcnt lgkmcnt(0)
	s_barrier
	global_load_dwordx4 v[115:118], v1, s[2:3] offset:16
	global_load_dwordx4 v[93:96], v1, s[2:3]
	v_and_b32_e32 v1, 15, v7
	v_lshlrev_b32_e32 v2, 5, v1
	global_load_dwordx4 v[97:100], v2, s[2:3] offset:16
	global_load_dwordx4 v[103:106], v2, s[2:3]
	v_addc_co_u32_e64 v4, s[8:9], 0, 0, vcc
	s_movk_i32 s8, 0x288
	v_add_co_u32_e32 v6, vcc, s8, v84
	v_and_b32_e32 v2, 15, v6
	v_lshlrev_b32_e32 v3, 5, v2
	global_load_dwordx4 v[107:110], v3, s[2:3] offset:16
	global_load_dwordx4 v[111:114], v3, s[2:3]
	s_movk_i32 s8, 0x3cc
	v_add_co_u32_e32 v8, vcc, s8, v84
	v_and_b32_e32 v3, 15, v8
	v_lshlrev_b32_e32 v5, 5, v3
	global_load_dwordx4 v[119:122], v5, s[2:3]
	global_load_dwordx4 v[123:126], v5, s[2:3] offset:16
	v_mov_b32_e32 v5, 4
	v_lshlrev_b32_sdwa v86, v5, v84 dst_sel:DWORD dst_unused:UNUSED_PAD src0_sel:DWORD src1_sel:WORD_0
	ds_read_b128 v[9:12], v86 offset:5184
	ds_read_b128 v[13:16], v86 offset:10368
	;; [unrolled: 1-line block ×10, first 2 shown]
	ds_read_b128 v[49:52], v86
	ds_read_b128 v[53:56], v86 offset:57024
	s_mov_b32 s8, 0xe8584caa
	s_mov_b32 s9, 0x3febb67a
	;; [unrolled: 1-line block ×4, first 2 shown]
	v_lshrrev_b32_e32 v5, 4, v84
	v_mul_u32_u24_e32 v5, 48, v5
	v_or_b32_e32 v0, v5, v0
	s_mov_b32 s16, 0xaaab
	s_movk_i32 s18, 0x1a00
	s_movk_i32 s19, 0x6c
	s_waitcnt vmcnt(7) lgkmcnt(3)
	v_mul_f64 v[61:62], v[43:44], v[117:118]
	s_waitcnt vmcnt(6)
	v_mul_f64 v[57:58], v[35:36], v[95:96]
	v_mul_f64 v[59:60], v[33:34], v[95:96]
	s_waitcnt vmcnt(5)
	v_mul_f64 v[69:70], v[27:28], v[99:100]
	s_waitcnt vmcnt(4)
	v_mul_f64 v[65:66], v[19:20], v[105:106]
	v_mul_f64 v[63:64], v[41:42], v[117:118]
	;; [unrolled: 1-line block ×4, first 2 shown]
	v_fma_f64 v[41:42], v[41:42], v[115:116], -v[61:62]
	v_fma_f64 v[33:34], v[33:34], v[93:94], -v[57:58]
	buffer_store_dword v93, off, s[24:27], 0 offset:72 ; 4-byte Folded Spill
	s_nop 0
	buffer_store_dword v94, off, s[24:27], 0 offset:76 ; 4-byte Folded Spill
	buffer_store_dword v95, off, s[24:27], 0 offset:80 ; 4-byte Folded Spill
	;; [unrolled: 1-line block ×3, first 2 shown]
	s_waitcnt vmcnt(7)
	v_mul_f64 v[77:78], v[31:32], v[109:110]
	s_waitcnt vmcnt(6)
	v_mul_f64 v[73:74], v[23:24], v[113:114]
	buffer_store_dword v115, off, s[24:27], 0 offset:252 ; 4-byte Folded Spill
	s_nop 0
	buffer_store_dword v116, off, s[24:27], 0 offset:256 ; 4-byte Folded Spill
	buffer_store_dword v117, off, s[24:27], 0 offset:260 ; 4-byte Folded Spill
	;; [unrolled: 1-line block ×3, first 2 shown]
	v_fma_f64 v[17:18], v[17:18], v[103:104], -v[65:66]
	buffer_store_dword v103, off, s[24:27], 0 offset:124 ; 4-byte Folded Spill
	s_nop 0
	buffer_store_dword v104, off, s[24:27], 0 offset:128 ; 4-byte Folded Spill
	buffer_store_dword v105, off, s[24:27], 0 offset:132 ; 4-byte Folded Spill
	;; [unrolled: 1-line block ×3, first 2 shown]
	v_fma_f64 v[25:26], v[25:26], v[97:98], -v[69:70]
	buffer_store_dword v97, off, s[24:27], 0 offset:104 ; 4-byte Folded Spill
	s_nop 0
	buffer_store_dword v98, off, s[24:27], 0 offset:108 ; 4-byte Folded Spill
	buffer_store_dword v99, off, s[24:27], 0 offset:112 ; 4-byte Folded Spill
	;; [unrolled: 1-line block ×3, first 2 shown]
	v_mul_f64 v[75:76], v[21:22], v[113:114]
	v_mul_f64 v[79:80], v[29:30], v[109:110]
	s_waitcnt vmcnt(17) lgkmcnt(2)
	v_mul_f64 v[81:82], v[47:48], v[121:122]
	s_waitcnt vmcnt(16) lgkmcnt(0)
	v_mul_f64 v[89:90], v[55:56], v[125:126]
	v_fma_f64 v[57:58], v[21:22], v[111:112], -v[73:74]
	buffer_store_dword v111, off, s[24:27], 0 offset:172 ; 4-byte Folded Spill
	s_nop 0
	buffer_store_dword v112, off, s[24:27], 0 offset:176 ; 4-byte Folded Spill
	buffer_store_dword v113, off, s[24:27], 0 offset:180 ; 4-byte Folded Spill
	;; [unrolled: 1-line block ×3, first 2 shown]
	v_fma_f64 v[61:62], v[29:30], v[107:108], -v[77:78]
	buffer_store_dword v107, off, s[24:27], 0 offset:140 ; 4-byte Folded Spill
	s_nop 0
	buffer_store_dword v108, off, s[24:27], 0 offset:144 ; 4-byte Folded Spill
	buffer_store_dword v109, off, s[24:27], 0 offset:148 ; 4-byte Folded Spill
	;; [unrolled: 1-line block ×3, first 2 shown]
	v_mul_f64 v[87:88], v[45:46], v[121:122]
	v_mul_f64 v[91:92], v[53:54], v[125:126]
	v_fma_f64 v[65:66], v[45:46], v[119:120], -v[81:82]
	buffer_store_dword v119, off, s[24:27], 0 offset:236 ; 4-byte Folded Spill
	s_nop 0
	buffer_store_dword v120, off, s[24:27], 0 offset:240 ; 4-byte Folded Spill
	buffer_store_dword v121, off, s[24:27], 0 offset:244 ; 4-byte Folded Spill
	;; [unrolled: 1-line block ×3, first 2 shown]
	v_fma_f64 v[53:54], v[53:54], v[123:124], -v[89:90]
	buffer_store_dword v123, off, s[24:27], 0 offset:220 ; 4-byte Folded Spill
	s_nop 0
	buffer_store_dword v124, off, s[24:27], 0 offset:224 ; 4-byte Folded Spill
	buffer_store_dword v125, off, s[24:27], 0 offset:228 ; 4-byte Folded Spill
	;; [unrolled: 1-line block ×3, first 2 shown]
	v_add_f64 v[21:22], v[49:50], v[33:34]
	v_add_f64 v[45:46], v[9:10], v[17:18]
	;; [unrolled: 1-line block ×3, first 2 shown]
	s_waitcnt vmcnt(0)
	s_barrier
	v_add_f64 v[89:90], v[65:66], v[53:54]
	v_fma_f64 v[35:36], v[35:36], v[93:94], v[59:60]
	v_fma_f64 v[43:44], v[43:44], v[115:116], v[63:64]
	v_fma_f64 v[19:20], v[19:20], v[103:104], v[67:68]
	v_add_f64 v[67:68], v[17:18], v[25:26]
	v_fma_f64 v[27:28], v[27:28], v[97:98], v[71:72]
	v_add_f64 v[29:30], v[35:36], -v[43:44]
	v_fma_f64 v[59:60], v[23:24], v[111:112], v[75:76]
	v_add_f64 v[23:24], v[33:34], v[41:42]
	v_fma_f64 v[63:64], v[31:32], v[107:108], v[79:80]
	v_add_f64 v[31:32], v[51:52], v[35:36]
	v_add_f64 v[35:36], v[35:36], v[43:44]
	;; [unrolled: 1-line block ×3, first 2 shown]
	v_fma_f64 v[47:48], v[47:48], v[119:120], v[87:88]
	v_add_f64 v[33:34], v[33:34], -v[41:42]
	v_fma_f64 v[55:56], v[55:56], v[123:124], v[91:92]
	v_add_f64 v[69:70], v[19:20], -v[27:28]
	v_add_f64 v[71:72], v[11:12], v[19:20]
	v_add_f64 v[75:76], v[17:18], -v[25:26]
	v_add_f64 v[17:18], v[21:22], v[41:42]
	v_fma_f64 v[41:42], v[23:24], -0.5, v[49:50]
	v_add_f64 v[19:20], v[31:32], v[43:44]
	v_fma_f64 v[31:32], v[35:36], -0.5, v[51:52]
	v_fma_f64 v[35:36], v[67:68], -0.5, v[9:10]
	;; [unrolled: 1-line block ×3, first 2 shown]
	v_add_f64 v[79:80], v[57:58], v[61:62]
	v_add_f64 v[87:88], v[59:60], v[63:64]
	;; [unrolled: 1-line block ×4, first 2 shown]
	v_fma_f64 v[25:26], v[29:30], s[8:9], v[41:42]
	v_fma_f64 v[29:30], v[29:30], s[10:11], v[41:42]
	;; [unrolled: 1-line block ×8, first 2 shown]
	v_add_f64 v[11:12], v[47:48], v[55:56]
	v_add_f64 v[49:50], v[15:16], v[59:60]
	v_add_f64 v[81:82], v[59:60], -v[63:64]
	v_fma_f64 v[45:46], v[79:80], -0.5, v[13:14]
	v_fma_f64 v[51:52], v[87:88], -0.5, v[15:16]
	v_add_f64 v[57:58], v[57:58], -v[61:62]
	v_add_f64 v[59:60], v[37:38], v[65:66]
	v_add_f64 v[69:70], v[39:40], v[47:48]
	v_lshlrev_b32_e32 v111, 4, v0
	v_lshrrev_b32_e32 v0, 4, v7
	v_add_f64 v[9:10], v[77:78], v[61:62]
	v_fma_f64 v[61:62], v[89:90], -0.5, v[37:38]
	v_add_f64 v[67:68], v[47:48], -v[55:56]
	v_fma_f64 v[71:72], v[11:12], -0.5, v[39:40]
	v_add_f64 v[65:66], v[65:66], -v[53:54]
	v_mul_u32_u24_e32 v0, 48, v0
	v_or_b32_e32 v0, v0, v1
	v_lshlrev_b32_e32 v109, 4, v0
	v_lshrrev_b32_e32 v0, 4, v6
	v_mul_u32_u24_e32 v0, 48, v0
	v_or_b32_e32 v0, v0, v2
	v_add_f64 v[11:12], v[49:50], v[63:64]
	v_lshlrev_b32_e32 v89, 4, v0
	v_lshrrev_b32_e32 v0, 4, v8
	v_fma_f64 v[13:14], v[81:82], s[8:9], v[45:46]
	v_fma_f64 v[15:16], v[57:58], s[10:11], v[51:52]
	v_mul_u32_u24_e32 v0, 48, v0
	v_fma_f64 v[45:46], v[81:82], s[10:11], v[45:46]
	v_fma_f64 v[47:48], v[57:58], s[8:9], v[51:52]
	v_add_f64 v[37:38], v[59:60], v[53:54]
	v_add_f64 v[39:40], v[69:70], v[55:56]
	v_or_b32_e32 v0, v0, v3
	v_fma_f64 v[49:50], v[67:68], s[8:9], v[61:62]
	v_fma_f64 v[51:52], v[65:66], s[10:11], v[71:72]
	v_lshlrev_b32_e32 v88, 4, v0
	v_mul_u32_u24_sdwa v0, v84, s16 dst_sel:DWORD dst_unused:UNUSED_PAD src0_sel:WORD_0 src1_sel:DWORD
	v_fma_f64 v[53:54], v[67:68], s[10:11], v[61:62]
	v_fma_f64 v[55:56], v[65:66], s[8:9], v[71:72]
	v_lshrrev_b32_e32 v0, 21, v0
	v_mul_lo_u16_e32 v1, 48, v0
	v_sub_u16_e32 v1, v84, v1
	v_lshlrev_b16_e32 v2, 5, v1
	ds_write_b128 v111, v[17:20]
	ds_write_b128 v111, v[25:28] offset:256
	ds_write_b128 v111, v[29:32] offset:512
	ds_write_b128 v109, v[21:24]
	ds_write_b128 v109, v[33:36] offset:256
	ds_write_b128 v109, v[41:44] offset:512
	;; [unrolled: 3-line block ×3, first 2 shown]
	v_mov_b32_e32 v9, s3
	v_add_co_u32_e32 v2, vcc, s2, v2
	v_addc_co_u32_e32 v3, vcc, 0, v9, vcc
	ds_write_b128 v88, v[37:40]
	ds_write_b128 v88, v[49:52] offset:256
	ds_write_b128 v88, v[53:56] offset:512
	s_waitcnt lgkmcnt(0)
	s_barrier
	global_load_dwordx4 v[53:56], v[2:3], off offset:528
	global_load_dwordx4 v[57:60], v[2:3], off offset:512
	v_mul_u32_u24_sdwa v2, v7, s16 dst_sel:DWORD dst_unused:UNUSED_PAD src0_sel:WORD_0 src1_sel:DWORD
	v_lshrrev_b32_e32 v2, 21, v2
	v_mul_lo_u16_e32 v3, 48, v2
	v_sub_u16_e32 v3, v7, v3
	v_lshlrev_b16_e32 v5, 5, v3
	v_add_co_u32_e32 v10, vcc, s2, v5
	v_mul_u32_u24_sdwa v5, v6, s16 dst_sel:DWORD dst_unused:UNUSED_PAD src0_sel:WORD_0 src1_sel:DWORD
	v_addc_co_u32_e32 v11, vcc, 0, v9, vcc
	v_lshrrev_b32_e32 v5, 21, v5
	global_load_dwordx4 v[61:64], v[10:11], off offset:528
	global_load_dwordx4 v[65:68], v[10:11], off offset:512
	v_mul_lo_u16_e32 v10, 48, v5
	v_sub_u16_e32 v10, v6, v10
	v_lshlrev_b16_e32 v11, 5, v10
	v_add_co_u32_e32 v11, vcc, s2, v11
	v_addc_co_u32_e32 v12, vcc, 0, v9, vcc
	global_load_dwordx4 v[69:72], v[11:12], off offset:528
	global_load_dwordx4 v[73:76], v[11:12], off offset:512
	v_mul_u32_u24_sdwa v11, v8, s16 dst_sel:DWORD dst_unused:UNUSED_PAD src0_sel:WORD_0 src1_sel:DWORD
	v_lshrrev_b32_e32 v11, 21, v11
	v_mul_lo_u16_e32 v12, 48, v11
	v_sub_u16_e32 v12, v8, v12
	v_lshlrev_b16_e32 v13, 5, v12
	v_add_co_u32_e32 v13, vcc, s2, v13
	v_addc_co_u32_e32 v14, vcc, 0, v9, vcc
	global_load_dwordx4 v[90:93], v[13:14], off offset:512
	global_load_dwordx4 v[77:80], v[13:14], off offset:528
	ds_read_b128 v[13:16], v86 offset:20736
	ds_read_b128 v[17:20], v86 offset:15552
	;; [unrolled: 1-line block ×6, first 2 shown]
	s_movk_i32 s3, 0x90
	v_mad_legacy_u16 v0, v0, s3, v1
	v_lshlrev_b32_e32 v0, 4, v0
	s_movk_i32 s16, 0xff94
	s_waitcnt vmcnt(7) lgkmcnt(3)
	v_mul_f64 v[43:44], v[23:24], v[55:56]
	s_waitcnt vmcnt(6)
	v_mul_f64 v[37:38], v[15:16], v[59:60]
	v_mul_f64 v[41:42], v[13:14], v[59:60]
	;; [unrolled: 1-line block ×3, first 2 shown]
	v_fma_f64 v[43:44], v[21:22], v[53:54], -v[43:44]
	v_fma_f64 v[47:48], v[13:14], v[57:58], -v[37:38]
	ds_read_b128 v[37:40], v86 offset:46656
	buffer_store_dword v57, off, s[24:27], 0 offset:268 ; 4-byte Folded Spill
	s_nop 0
	buffer_store_dword v58, off, s[24:27], 0 offset:272 ; 4-byte Folded Spill
	buffer_store_dword v59, off, s[24:27], 0 offset:276 ; 4-byte Folded Spill
	;; [unrolled: 1-line block ×3, first 2 shown]
	s_waitcnt vmcnt(8) lgkmcnt(3)
	v_mul_f64 v[49:50], v[27:28], v[67:68]
	v_mul_f64 v[51:52], v[25:26], v[67:68]
	s_waitcnt lgkmcnt(0)
	v_mul_f64 v[21:22], v[39:40], v[63:64]
	v_fma_f64 v[49:50], v[25:26], v[65:66], -v[49:50]
	s_waitcnt vmcnt(6)
	v_mul_f64 v[25:26], v[31:32], v[75:76]
	v_fma_f64 v[41:42], v[15:16], v[57:58], v[41:42]
	ds_read_b128 v[13:16], v86 offset:51840
	buffer_store_dword v53, off, s[24:27], 0 offset:204 ; 4-byte Folded Spill
	s_nop 0
	buffer_store_dword v54, off, s[24:27], 0 offset:208 ; 4-byte Folded Spill
	buffer_store_dword v55, off, s[24:27], 0 offset:212 ; 4-byte Folded Spill
	;; [unrolled: 1-line block ×4, first 2 shown]
	s_nop 0
	buffer_store_dword v66, off, s[24:27], 0 offset:352 ; 4-byte Folded Spill
	buffer_store_dword v67, off, s[24:27], 0 offset:356 ; 4-byte Folded Spill
	;; [unrolled: 1-line block ×3, first 2 shown]
	v_fma_f64 v[45:46], v[23:24], v[53:54], v[45:46]
	v_mul_f64 v[23:24], v[37:38], v[63:64]
	v_fma_f64 v[37:38], v[37:38], v[61:62], -v[21:22]
	buffer_store_dword v61, off, s[24:27], 0 offset:284 ; 4-byte Folded Spill
	s_nop 0
	buffer_store_dword v62, off, s[24:27], 0 offset:288 ; 4-byte Folded Spill
	buffer_store_dword v63, off, s[24:27], 0 offset:292 ; 4-byte Folded Spill
	;; [unrolled: 1-line block ×3, first 2 shown]
	s_waitcnt lgkmcnt(0)
	v_mul_f64 v[21:22], v[15:16], v[71:72]
	v_fma_f64 v[51:52], v[27:28], v[65:66], v[51:52]
	v_mul_f64 v[27:28], v[29:30], v[75:76]
	v_fma_f64 v[53:54], v[29:30], v[73:74], -v[25:26]
	buffer_store_dword v73, off, s[24:27], 0 offset:416 ; 4-byte Folded Spill
	s_nop 0
	buffer_store_dword v74, off, s[24:27], 0 offset:420 ; 4-byte Folded Spill
	buffer_store_dword v75, off, s[24:27], 0 offset:424 ; 4-byte Folded Spill
	;; [unrolled: 1-line block ×3, first 2 shown]
	s_waitcnt vmcnt(21)
	v_mul_f64 v[25:26], v[35:36], v[92:93]
	v_add_f64 v[29:30], v[47:48], -v[43:44]
	v_fma_f64 v[57:58], v[13:14], v[69:70], -v[21:22]
	v_fma_f64 v[39:40], v[39:40], v[61:62], v[23:24]
	v_mul_f64 v[23:24], v[13:14], v[71:72]
	buffer_store_dword v69, off, s[24:27], 0 offset:364 ; 4-byte Folded Spill
	s_nop 0
	buffer_store_dword v70, off, s[24:27], 0 offset:368 ; 4-byte Folded Spill
	buffer_store_dword v71, off, s[24:27], 0 offset:372 ; 4-byte Folded Spill
	;; [unrolled: 1-line block ×3, first 2 shown]
	v_fma_f64 v[61:62], v[33:34], v[90:91], -v[25:26]
	v_fma_f64 v[55:56], v[31:32], v[73:74], v[27:28]
	v_mul_f64 v[27:28], v[33:34], v[92:93]
	v_fma_f64 v[59:60], v[15:16], v[69:70], v[23:24]
	ds_read_b128 v[13:16], v86 offset:57024
	buffer_store_dword v90, off, s[24:27], 0 offset:480 ; 4-byte Folded Spill
	s_nop 0
	buffer_store_dword v91, off, s[24:27], 0 offset:484 ; 4-byte Folded Spill
	buffer_store_dword v92, off, s[24:27], 0 offset:488 ; 4-byte Folded Spill
	;; [unrolled: 1-line block ×3, first 2 shown]
	ds_read_b128 v[21:24], v86
	s_waitcnt vmcnt(28) lgkmcnt(1)
	v_mul_f64 v[25:26], v[15:16], v[79:80]
	v_fma_f64 v[65:66], v[13:14], v[77:78], -v[25:26]
	v_mul_f64 v[13:14], v[13:14], v[79:80]
	buffer_store_dword v77, off, s[24:27], 0 offset:448 ; 4-byte Folded Spill
	s_nop 0
	buffer_store_dword v78, off, s[24:27], 0 offset:452 ; 4-byte Folded Spill
	buffer_store_dword v79, off, s[24:27], 0 offset:456 ; 4-byte Folded Spill
	;; [unrolled: 1-line block ×3, first 2 shown]
	v_fma_f64 v[63:64], v[35:36], v[90:91], v[27:28]
	v_fma_f64 v[67:68], v[15:16], v[77:78], v[13:14]
	v_add_f64 v[13:14], v[47:48], v[43:44]
	s_waitcnt lgkmcnt(0)
	v_fma_f64 v[25:26], v[13:14], -0.5, v[21:22]
	v_add_f64 v[13:14], v[41:42], v[45:46]
	v_add_f64 v[21:22], v[21:22], v[47:48]
	v_add_f64 v[47:48], v[49:50], -v[37:38]
	v_fma_f64 v[27:28], v[13:14], -0.5, v[23:24]
	v_add_f64 v[13:14], v[23:24], v[41:42]
	v_add_f64 v[23:24], v[41:42], -v[45:46]
	v_add_f64 v[41:42], v[49:50], v[37:38]
	v_add_f64 v[15:16], v[13:14], v[45:46]
	;; [unrolled: 1-line block ×3, first 2 shown]
	v_fma_f64 v[21:22], v[23:24], s[8:9], v[25:26]
	v_fma_f64 v[25:26], v[23:24], s[10:11], v[25:26]
	;; [unrolled: 1-line block ×4, first 2 shown]
	ds_read_b128 v[29:32], v86 offset:5184
	ds_read_b128 v[33:36], v86 offset:10368
	v_add_f64 v[43:44], v[51:52], v[39:40]
	v_add_f64 v[45:46], v[51:52], -v[39:40]
	s_waitcnt lgkmcnt(0)
	v_fma_f64 v[41:42], v[41:42], -0.5, v[29:30]
	v_add_f64 v[29:30], v[29:30], v[49:50]
	v_add_f64 v[49:50], v[55:56], -v[59:60]
	s_waitcnt vmcnt(0)
	s_barrier
	v_fma_f64 v[43:44], v[43:44], -0.5, v[31:32]
	v_add_f64 v[31:32], v[31:32], v[51:52]
	ds_write_b128 v0, v[13:16]
	ds_write_b128 v0, v[21:24] offset:768
	buffer_store_dword v0, off, s[24:27], 0 offset:120 ; 4-byte Folded Spill
	v_add_f64 v[29:30], v[29:30], v[37:38]
	v_fma_f64 v[37:38], v[45:46], s[8:9], v[41:42]
	v_fma_f64 v[41:42], v[45:46], s[10:11], v[41:42]
	v_add_f64 v[45:46], v[53:54], v[57:58]
	ds_write_b128 v0, v[25:28] offset:1536
	v_add_f64 v[31:32], v[31:32], v[39:40]
	v_fma_f64 v[39:40], v[47:48], s[10:11], v[43:44]
	v_fma_f64 v[43:44], v[47:48], s[8:9], v[43:44]
	v_mad_legacy_u16 v0, v2, s3, v3
	v_lshlrev_b32_e32 v116, 4, v0
	v_mad_legacy_u16 v0, v5, s3, v10
	v_fma_f64 v[47:48], v[45:46], -0.5, v[33:34]
	v_add_f64 v[45:46], v[55:56], v[59:60]
	v_add_f64 v[33:34], v[33:34], v[53:54]
	v_add_f64 v[53:54], v[53:54], -v[57:58]
	v_lshlrev_b32_e32 v127, 4, v0
	v_mad_legacy_u16 v0, v11, s3, v12
	s_mov_b32 s3, 0xe38f
	v_lshlrev_b32_e32 v110, 4, v0
	v_mul_u32_u24_sdwa v0, v84, s3 dst_sel:DWORD dst_unused:UNUSED_PAD src0_sel:WORD_0 src1_sel:DWORD
	v_fma_f64 v[51:52], v[45:46], -0.5, v[35:36]
	v_fma_f64 v[45:46], v[49:50], s[8:9], v[47:48]
	v_fma_f64 v[49:50], v[49:50], s[10:11], v[47:48]
	v_add_f64 v[35:36], v[35:36], v[55:56]
	v_add_f64 v[33:34], v[33:34], v[57:58]
	v_add_f64 v[57:58], v[63:64], -v[67:68]
	v_lshrrev_b32_e32 v5, 23, v0
	v_mul_lo_u16_e32 v0, 0x90, v5
	v_fma_f64 v[47:48], v[53:54], s[10:11], v[51:52]
	v_fma_f64 v[51:52], v[53:54], s[8:9], v[51:52]
	v_add_f64 v[53:54], v[61:62], v[65:66]
	v_add_f64 v[35:36], v[35:36], v[59:60]
	v_sub_u16_e32 v10, v84, v0
	v_lshlrev_b16_e32 v0, 5, v10
	v_add_co_u32_e32 v0, vcc, s2, v0
	v_addc_co_u32_e32 v1, vcc, 0, v9, vcc
	v_fma_f64 v[55:56], v[53:54], -0.5, v[17:18]
	v_add_f64 v[53:54], v[63:64], v[67:68]
	v_add_f64 v[17:18], v[17:18], v[61:62]
	v_add_f64 v[61:62], v[61:62], -v[65:66]
	ds_write_b128 v116, v[29:32]
	ds_write_b128 v116, v[37:40] offset:768
	ds_write_b128 v116, v[41:44] offset:1536
	ds_write_b128 v127, v[33:36]
	ds_write_b128 v127, v[45:48] offset:768
	ds_write_b128 v127, v[49:52] offset:1536
	v_fma_f64 v[59:60], v[53:54], -0.5, v[19:20]
	v_add_f64 v[19:20], v[19:20], v[63:64]
	v_add_f64 v[17:18], v[17:18], v[65:66]
	v_fma_f64 v[53:54], v[57:58], s[8:9], v[55:56]
	v_fma_f64 v[57:58], v[57:58], s[10:11], v[55:56]
	;; [unrolled: 1-line block ×3, first 2 shown]
	v_add_f64 v[19:20], v[19:20], v[67:68]
	v_fma_f64 v[59:60], v[61:62], s[8:9], v[59:60]
	ds_write_b128 v110, v[17:20]
	ds_write_b128 v110, v[53:56] offset:768
	ds_write_b128 v110, v[57:60] offset:1536
	s_waitcnt vmcnt(0) lgkmcnt(0)
	s_barrier
	global_load_dwordx4 v[42:45], v[0:1], off offset:2048
	global_load_dwordx4 v[36:39], v[0:1], off offset:2064
	v_mul_u32_u24_sdwa v0, v7, s3 dst_sel:DWORD dst_unused:UNUSED_PAD src0_sel:WORD_0 src1_sel:DWORD
	v_lshrrev_b32_e32 v11, 23, v0
	v_mul_lo_u16_e32 v0, 0x90, v11
	v_sub_u16_e32 v12, v7, v0
	v_lshlrev_b16_e32 v0, 5, v12
	v_add_co_u32_e32 v0, vcc, s2, v0
	v_addc_co_u32_e32 v1, vcc, 0, v9, vcc
	global_load_dwordx4 v[48:51], v[0:1], off offset:2048
	global_load_dwordx4 v[58:61], v[0:1], off offset:2064
	ds_read_b128 v[13:16], v86 offset:20736
	ds_read_b128 v[0:3], v86 offset:15552
	;; [unrolled: 1-line block ×4, first 2 shown]
	s_waitcnt vmcnt(3) lgkmcnt(3)
	v_mul_f64 v[21:22], v[15:16], v[44:45]
	v_mul_f64 v[23:24], v[13:14], v[44:45]
	s_waitcnt vmcnt(2) lgkmcnt(1)
	v_mul_f64 v[25:26], v[19:20], v[38:39]
	v_mul_f64 v[27:28], v[17:18], v[38:39]
	v_fma_f64 v[40:41], v[13:14], v[42:43], -v[21:22]
	buffer_store_dword v42, off, s[24:27], 0 offset:332 ; 4-byte Folded Spill
	s_nop 0
	buffer_store_dword v43, off, s[24:27], 0 offset:336 ; 4-byte Folded Spill
	buffer_store_dword v44, off, s[24:27], 0 offset:340 ; 4-byte Folded Spill
	;; [unrolled: 1-line block ×3, first 2 shown]
	v_fma_f64 v[44:45], v[17:18], v[36:37], -v[25:26]
	v_fma_f64 v[42:43], v[15:16], v[42:43], v[23:24]
	ds_read_b128 v[13:16], v86 offset:25920
	buffer_store_dword v36, off, s[24:27], 0 offset:316 ; 4-byte Folded Spill
	s_nop 0
	buffer_store_dword v37, off, s[24:27], 0 offset:320 ; 4-byte Folded Spill
	buffer_store_dword v38, off, s[24:27], 0 offset:324 ; 4-byte Folded Spill
	buffer_store_dword v39, off, s[24:27], 0 offset:328 ; 4-byte Folded Spill
	s_waitcnt vmcnt(9) lgkmcnt(0)
	v_mul_f64 v[17:18], v[15:16], v[50:51]
	v_fma_f64 v[52:53], v[13:14], v[48:49], -v[17:18]
	v_mul_f64 v[13:14], v[13:14], v[50:51]
	v_fma_f64 v[46:47], v[19:20], v[36:37], v[27:28]
	ds_read_b128 v[24:27], v86 offset:31104
	buffer_store_dword v48, off, s[24:27], 0 offset:400 ; 4-byte Folded Spill
	s_nop 0
	buffer_store_dword v49, off, s[24:27], 0 offset:404 ; 4-byte Folded Spill
	buffer_store_dword v50, off, s[24:27], 0 offset:408 ; 4-byte Folded Spill
	;; [unrolled: 1-line block ×3, first 2 shown]
	v_fma_f64 v[54:55], v[15:16], v[48:49], v[13:14]
	ds_read_b128 v[13:16], v86 offset:46656
	ds_read_b128 v[28:31], v86 offset:51840
	s_waitcnt vmcnt(12) lgkmcnt(1)
	v_mul_f64 v[17:18], v[15:16], v[60:61]
	v_fma_f64 v[56:57], v[13:14], v[58:59], -v[17:18]
	v_mul_f64 v[13:14], v[13:14], v[60:61]
	buffer_store_dword v58, off, s[24:27], 0 offset:512 ; 4-byte Folded Spill
	s_nop 0
	buffer_store_dword v59, off, s[24:27], 0 offset:516 ; 4-byte Folded Spill
	buffer_store_dword v60, off, s[24:27], 0 offset:520 ; 4-byte Folded Spill
	;; [unrolled: 1-line block ×3, first 2 shown]
	v_add_f64 v[76:77], v[52:53], v[56:57]
	v_fma_f64 v[58:59], v[15:16], v[58:59], v[13:14]
	v_mul_u32_u24_sdwa v13, v6, s3 dst_sel:DWORD dst_unused:UNUSED_PAD src0_sel:WORD_0 src1_sel:DWORD
	v_lshrrev_b32_e32 v13, 23, v13
	v_mul_lo_u16_e32 v14, 0x90, v13
	v_sub_u16_e32 v14, v6, v14
	v_lshlrev_b16_e32 v15, 5, v14
	v_add_co_u32_e32 v20, vcc, s2, v15
	v_addc_co_u32_e32 v21, vcc, 0, v9, vcc
	global_load_dwordx4 v[15:18], v[20:21], off offset:2048
	s_nop 0
	global_load_dwordx4 v[19:22], v[20:21], off offset:2064
	v_add_f64 v[78:79], v[54:55], v[58:59]
	s_waitcnt vmcnt(1)
	v_mul_f64 v[36:37], v[26:27], v[17:18]
	v_fma_f64 v[60:61], v[24:25], v[15:16], -v[36:37]
	v_mul_f64 v[24:25], v[24:25], v[17:18]
	buffer_store_dword v15, off, s[24:27], 0 offset:592 ; 4-byte Folded Spill
	s_nop 0
	buffer_store_dword v16, off, s[24:27], 0 offset:596 ; 4-byte Folded Spill
	buffer_store_dword v17, off, s[24:27], 0 offset:600 ; 4-byte Folded Spill
	;; [unrolled: 1-line block ×3, first 2 shown]
	v_fma_f64 v[62:63], v[26:27], v[15:16], v[24:25]
	s_waitcnt vmcnt(4) lgkmcnt(0)
	v_mul_f64 v[24:25], v[30:31], v[21:22]
	v_mul_u32_u24_sdwa v15, v8, s3 dst_sel:DWORD dst_unused:UNUSED_PAD src0_sel:WORD_0 src1_sel:DWORD
	v_lshrrev_b32_e32 v15, 23, v15
	s_movk_i32 s3, 0x1b0
	v_mad_legacy_u16 v5, v5, s3, v10
	v_lshlrev_b32_e32 v90, 4, v5
	v_mad_legacy_u16 v5, v11, s3, v12
	v_lshlrev_b32_e32 v91, 4, v5
	v_fma_f64 v[64:65], v[28:29], v[19:20], -v[24:25]
	v_mul_f64 v[24:25], v[28:29], v[21:22]
	buffer_store_dword v19, off, s[24:27], 0 offset:608 ; 4-byte Folded Spill
	s_nop 0
	buffer_store_dword v20, off, s[24:27], 0 offset:612 ; 4-byte Folded Spill
	buffer_store_dword v21, off, s[24:27], 0 offset:616 ; 4-byte Folded Spill
	;; [unrolled: 1-line block ×3, first 2 shown]
	v_mad_legacy_u16 v5, v13, s3, v14
	v_lshlrev_b32_e32 v107, 4, v5
	v_fma_f64 v[66:67], v[30:31], v[19:20], v[24:25]
	v_mul_lo_u16_e32 v24, 0x90, v15
	v_sub_u16_e32 v80, v8, v24
	v_lshlrev_b16_e32 v24, 5, v80
	v_add_co_u32_e32 v28, vcc, s2, v24
	v_addc_co_u32_e32 v29, vcc, 0, v9, vcc
	global_load_dwordx4 v[16:19], v[28:29], off offset:2048
	s_nop 0
	global_load_dwordx4 v[28:31], v[28:29], off offset:2064
	v_mad_legacy_u16 v5, v15, s3, v80
	v_lshlrev_b32_e32 v108, 4, v5
	s_movk_i32 s3, 0x1000
	s_waitcnt vmcnt(1)
	v_mul_f64 v[36:37], v[34:35], v[18:19]
	v_fma_f64 v[68:69], v[32:33], v[16:17], -v[36:37]
	v_mul_f64 v[32:33], v[32:33], v[18:19]
	buffer_store_dword v16, off, s[24:27], 0 offset:624 ; 4-byte Folded Spill
	s_nop 0
	buffer_store_dword v17, off, s[24:27], 0 offset:628 ; 4-byte Folded Spill
	buffer_store_dword v18, off, s[24:27], 0 offset:632 ; 4-byte Folded Spill
	;; [unrolled: 1-line block ×3, first 2 shown]
	v_fma_f64 v[70:71], v[34:35], v[16:17], v[32:33]
	ds_read_b128 v[32:35], v86 offset:57024
	ds_read_b128 v[36:39], v86
	s_waitcnt vmcnt(4) lgkmcnt(1)
	v_mul_f64 v[48:49], v[34:35], v[30:31]
	v_fma_f64 v[72:73], v[32:33], v[28:29], -v[48:49]
	v_mul_f64 v[32:33], v[32:33], v[30:31]
	v_fma_f64 v[74:75], v[34:35], v[28:29], v[32:33]
	v_add_f64 v[32:33], v[40:41], v[44:45]
	s_waitcnt lgkmcnt(0)
	v_fma_f64 v[48:49], v[32:33], -0.5, v[36:37]
	v_add_f64 v[32:33], v[42:43], v[46:47]
	v_add_f64 v[36:37], v[36:37], v[40:41]
	v_fma_f64 v[50:51], v[32:33], -0.5, v[38:39]
	v_add_f64 v[32:33], v[38:39], v[42:43]
	v_add_f64 v[38:39], v[42:43], -v[46:47]
	v_add_f64 v[42:43], v[40:41], -v[44:45]
	v_add_f64 v[34:35], v[32:33], v[46:47]
	v_add_f64 v[32:33], v[36:37], v[44:45]
	v_fma_f64 v[36:37], v[38:39], s[8:9], v[48:49]
	v_fma_f64 v[40:41], v[38:39], s[10:11], v[48:49]
	;; [unrolled: 1-line block ×4, first 2 shown]
	ds_read_b128 v[44:47], v86 offset:5184
	ds_read_b128 v[48:51], v86 offset:10368
	s_waitcnt vmcnt(0) lgkmcnt(0)
	s_barrier
	v_fma_f64 v[78:79], v[78:79], -0.5, v[46:47]
	v_add_f64 v[46:47], v[46:47], v[54:55]
	v_fma_f64 v[76:77], v[76:77], -0.5, v[44:45]
	v_add_f64 v[44:45], v[44:45], v[52:53]
	v_add_f64 v[54:55], v[54:55], -v[58:59]
	ds_write_b128 v90, v[32:35]
	ds_write_b128 v90, v[36:39] offset:2304
	ds_write_b128 v90, v[40:43] offset:4608
	v_add_f64 v[46:47], v[46:47], v[58:59]
	v_add_f64 v[58:59], v[52:53], -v[56:57]
	v_add_f64 v[44:45], v[44:45], v[56:57]
	v_fma_f64 v[52:53], v[54:55], s[8:9], v[76:77]
	v_fma_f64 v[56:57], v[54:55], s[10:11], v[76:77]
	v_add_f64 v[76:77], v[60:61], v[64:65]
	v_fma_f64 v[54:55], v[58:59], s[10:11], v[78:79]
	v_fma_f64 v[58:59], v[58:59], s[8:9], v[78:79]
	v_add_f64 v[78:79], v[62:63], v[66:67]
	ds_write_b128 v91, v[44:47]
	ds_write_b128 v91, v[52:55] offset:2304
	ds_write_b128 v91, v[56:59] offset:4608
	v_fma_f64 v[76:77], v[76:77], -0.5, v[48:49]
	v_add_f64 v[48:49], v[48:49], v[60:61]
	v_fma_f64 v[78:79], v[78:79], -0.5, v[50:51]
	v_add_f64 v[50:51], v[50:51], v[62:63]
	v_add_f64 v[62:63], v[62:63], -v[66:67]
	v_add_f64 v[48:49], v[48:49], v[64:65]
	v_add_f64 v[50:51], v[50:51], v[66:67]
	v_add_f64 v[66:67], v[60:61], -v[64:65]
	v_fma_f64 v[60:61], v[62:63], s[8:9], v[76:77]
	v_fma_f64 v[64:65], v[62:63], s[10:11], v[76:77]
	v_add_f64 v[76:77], v[68:69], v[72:73]
	v_fma_f64 v[62:63], v[66:67], s[10:11], v[78:79]
	v_fma_f64 v[66:67], v[66:67], s[8:9], v[78:79]
	v_add_f64 v[78:79], v[70:71], v[74:75]
	v_fma_f64 v[76:77], v[76:77], -0.5, v[0:1]
	v_add_f64 v[0:1], v[0:1], v[68:69]
	ds_write_b128 v107, v[48:51]
	ds_write_b128 v107, v[60:63] offset:2304
	ds_write_b128 v107, v[64:67] offset:4608
	v_fma_f64 v[78:79], v[78:79], -0.5, v[2:3]
	v_add_f64 v[2:3], v[2:3], v[70:71]
	v_add_f64 v[70:71], v[70:71], -v[74:75]
	v_add_f64 v[0:1], v[0:1], v[72:73]
	v_add_f64 v[2:3], v[2:3], v[74:75]
	v_add_f64 v[74:75], v[68:69], -v[72:73]
	v_fma_f64 v[68:69], v[70:71], s[8:9], v[76:77]
	v_fma_f64 v[72:73], v[70:71], s[10:11], v[76:77]
	;; [unrolled: 1-line block ×4, first 2 shown]
	ds_write_b128 v108, v[0:3]
	ds_write_b128 v108, v[68:71] offset:2304
	ds_write_b128 v108, v[72:75] offset:4608
	v_lshlrev_b32_e32 v0, 5, v84
	v_add_co_u32_e32 v10, vcc, s2, v0
	v_addc_co_u32_e32 v11, vcc, 0, v9, vcc
	v_add_co_u32_e32 v0, vcc, s3, v10
	v_addc_co_u32_e32 v1, vcc, 0, v11, vcc
	s_waitcnt lgkmcnt(0)
	s_barrier
	global_load_dwordx4 v[112:115], v[0:1], off offset:2560
	v_add_co_u32_e32 v0, vcc, s18, v10
	v_addc_co_u32_e32 v1, vcc, 0, v11, vcc
	global_load_dwordx4 v[103:106], v[0:1], off offset:16
	ds_read_b128 v[12:15], v86 offset:20736
	ds_read_b128 v[0:3], v86 offset:15552
	s_waitcnt vmcnt(1) lgkmcnt(1)
	v_mul_f64 v[32:33], v[14:15], v[114:115]
	v_fma_f64 v[44:45], v[12:13], v[112:113], -v[32:33]
	v_mul_f64 v[12:13], v[12:13], v[114:115]
	v_fma_f64 v[46:47], v[14:15], v[112:113], v[12:13]
	ds_read_b128 v[12:15], v86 offset:41472
	ds_read_b128 v[32:35], v86 offset:36288
	s_waitcnt vmcnt(0) lgkmcnt(1)
	v_mul_f64 v[36:37], v[14:15], v[105:106]
	v_fma_f64 v[48:49], v[12:13], v[103:104], -v[36:37]
	v_mul_f64 v[12:13], v[12:13], v[105:106]
	v_fma_f64 v[50:51], v[14:15], v[103:104], v[12:13]
	v_add_co_u32_e32 v12, vcc, s16, v84
	v_addc_co_u32_e64 v5, s[16:17], 0, -1, vcc
	v_cmp_gt_u16_e32 vcc, s19, v84
	v_cndmask_b32_e32 v5, v5, v4, vcc
	v_cndmask_b32_e32 v4, v12, v7, vcc
	v_lshlrev_b64 v[12:13], 5, v[4:5]
	v_add_co_u32_e32 v5, vcc, s2, v12
	v_addc_co_u32_e32 v15, vcc, v9, v13, vcc
	v_add_co_u32_e32 v12, vcc, s18, v5
	v_addc_co_u32_e32 v13, vcc, 0, v15, vcc
	;; [unrolled: 2-line block ×3, first 2 shown]
	global_load_dwordx4 v[16:19], v[14:15], off offset:2560
	global_load_dwordx4 v[123:126], v[12:13], off offset:16
	ds_read_b128 v[12:15], v86 offset:25920
	ds_read_b128 v[36:39], v86 offset:31104
	v_lshrrev_b16_e32 v5, 4, v6
	v_mul_u32_u24_e32 v5, 0x12f7, v5
	v_lshrrev_b32_e32 v5, 17, v5
	s_waitcnt vmcnt(1) lgkmcnt(1)
	v_mul_f64 v[40:41], v[14:15], v[18:19]
	v_fma_f64 v[52:53], v[12:13], v[16:17], -v[40:41]
	v_mul_f64 v[12:13], v[12:13], v[18:19]
	buffer_store_dword v16, off, s[24:27], 0 offset:88 ; 4-byte Folded Spill
	s_nop 0
	buffer_store_dword v17, off, s[24:27], 0 offset:92 ; 4-byte Folded Spill
	buffer_store_dword v18, off, s[24:27], 0 offset:96 ; 4-byte Folded Spill
	;; [unrolled: 1-line block ×3, first 2 shown]
	v_fma_f64 v[54:55], v[14:15], v[16:17], v[12:13]
	ds_read_b128 v[12:15], v86 offset:46656
	ds_read_b128 v[40:43], v86 offset:51840
	s_waitcnt vmcnt(4) lgkmcnt(1)
	v_mul_f64 v[56:57], v[14:15], v[125:126]
	v_fma_f64 v[56:57], v[12:13], v[123:124], -v[56:57]
	v_mul_f64 v[12:13], v[12:13], v[125:126]
	v_fma_f64 v[13:14], v[14:15], v[123:124], v[12:13]
	v_mul_lo_u16_e32 v12, 0x1b0, v5
	v_sub_u16_e32 v12, v6, v12
	v_lshlrev_b16_e32 v15, 5, v12
	v_add_co_u32_e32 v15, vcc, s2, v15
	v_addc_co_u32_e32 v61, vcc, 0, v9, vcc
	v_add_co_u32_e32 v58, vcc, s18, v15
	v_addc_co_u32_e32 v59, vcc, 0, v61, vcc
	;; [unrolled: 2-line block ×3, first 2 shown]
	global_load_dwordx4 v[19:22], v[60:61], off offset:2560
	global_load_dwordx4 v[15:18], v[58:59], off offset:16
	v_add_f64 v[76:77], v[54:55], v[13:14]
	s_waitcnt vmcnt(1)
	v_mul_f64 v[58:59], v[38:39], v[21:22]
	v_fma_f64 v[60:61], v[36:37], v[19:20], -v[58:59]
	v_mul_f64 v[36:37], v[36:37], v[21:22]
	buffer_store_dword v19, off, s[24:27], 0 offset:188 ; 4-byte Folded Spill
	s_nop 0
	buffer_store_dword v20, off, s[24:27], 0 offset:192 ; 4-byte Folded Spill
	buffer_store_dword v21, off, s[24:27], 0 offset:196 ; 4-byte Folded Spill
	;; [unrolled: 1-line block ×3, first 2 shown]
	v_add_f64 v[58:59], v[52:53], v[56:57]
	v_fma_f64 v[62:63], v[38:39], v[19:20], v[36:37]
	s_waitcnt vmcnt(4) lgkmcnt(0)
	v_mul_f64 v[36:37], v[42:43], v[17:18]
	v_fma_f64 v[64:65], v[40:41], v[15:16], -v[36:37]
	v_mul_f64 v[36:37], v[40:41], v[17:18]
	buffer_store_dword v15, off, s[24:27], 0 offset:156 ; 4-byte Folded Spill
	s_nop 0
	buffer_store_dword v16, off, s[24:27], 0 offset:160 ; 4-byte Folded Spill
	buffer_store_dword v17, off, s[24:27], 0 offset:164 ; 4-byte Folded Spill
	;; [unrolled: 1-line block ×3, first 2 shown]
	v_fma_f64 v[66:67], v[42:43], v[15:16], v[36:37]
	v_lshrrev_b16_e32 v15, 4, v8
	v_mul_u32_u24_e32 v15, 0x12f7, v15
	v_lshrrev_b32_e32 v15, 17, v15
	v_mul_lo_u16_e32 v15, 0x1b0, v15
	v_sub_u16_e32 v15, v8, v15
	v_lshlrev_b16_e32 v36, 5, v15
	v_add_co_u32_e32 v38, vcc, s2, v36
	v_addc_co_u32_e32 v39, vcc, 0, v9, vcc
	v_add_co_u32_e32 v36, vcc, s18, v38
	v_addc_co_u32_e32 v37, vcc, 0, v39, vcc
	;; [unrolled: 2-line block ×3, first 2 shown]
	global_load_dwordx4 v[16:19], v[38:39], off offset:2560
	global_load_dwordx4 v[117:120], v[36:37], off offset:16
	s_movk_i32 s3, 0x6b
	v_cmp_lt_u16_e32 vcc, s3, v84
	s_movk_i32 s3, 0x510
	v_lshlrev_b32_e32 v8, 5, v8
	s_waitcnt vmcnt(1)
	v_mul_f64 v[36:37], v[34:35], v[18:19]
	v_fma_f64 v[68:69], v[32:33], v[16:17], -v[36:37]
	v_mul_f64 v[32:33], v[32:33], v[18:19]
	buffer_store_dword v16, off, s[24:27], 0 offset:300 ; 4-byte Folded Spill
	s_nop 0
	buffer_store_dword v17, off, s[24:27], 0 offset:304 ; 4-byte Folded Spill
	buffer_store_dword v18, off, s[24:27], 0 offset:308 ; 4-byte Folded Spill
	;; [unrolled: 1-line block ×3, first 2 shown]
	v_fma_f64 v[70:71], v[34:35], v[16:17], v[32:33]
	ds_read_b128 v[32:35], v86 offset:57024
	ds_read_b128 v[36:39], v86
	s_waitcnt vmcnt(4) lgkmcnt(1)
	v_mul_f64 v[40:41], v[34:35], v[119:120]
	v_fma_f64 v[72:73], v[32:33], v[117:118], -v[40:41]
	v_mul_f64 v[32:33], v[32:33], v[119:120]
	v_fma_f64 v[74:75], v[34:35], v[117:118], v[32:33]
	v_add_f64 v[32:33], v[44:45], v[48:49]
	s_waitcnt lgkmcnt(0)
	v_fma_f64 v[40:41], v[32:33], -0.5, v[36:37]
	v_add_f64 v[32:33], v[46:47], v[50:51]
	v_add_f64 v[36:37], v[36:37], v[44:45]
	v_add_f64 v[44:45], v[44:45], -v[48:49]
	v_fma_f64 v[42:43], v[32:33], -0.5, v[38:39]
	v_add_f64 v[32:33], v[38:39], v[46:47]
	v_add_f64 v[38:39], v[46:47], -v[50:51]
	v_add_f64 v[34:35], v[32:33], v[50:51]
	v_add_f64 v[32:33], v[36:37], v[48:49]
	v_fma_f64 v[36:37], v[38:39], s[8:9], v[40:41]
	v_fma_f64 v[40:41], v[38:39], s[10:11], v[40:41]
	;; [unrolled: 1-line block ×4, first 2 shown]
	ds_read_b128 v[44:47], v86 offset:5184
	ds_read_b128 v[48:51], v86 offset:10368
	s_waitcnt vmcnt(0) lgkmcnt(0)
	s_barrier
	v_fma_f64 v[76:77], v[76:77], -0.5, v[46:47]
	v_add_f64 v[46:47], v[46:47], v[54:55]
	v_fma_f64 v[58:59], v[58:59], -0.5, v[44:45]
	v_add_f64 v[44:45], v[44:45], v[52:53]
	v_add_f64 v[54:55], v[54:55], -v[13:14]
	ds_write_b128 v86, v[32:35]
	ds_write_b128 v86, v[36:39] offset:6912
	ds_write_b128 v86, v[40:43] offset:13824
	v_add_f64 v[46:47], v[46:47], v[13:14]
	v_add_f64 v[13:14], v[52:53], -v[56:57]
	v_add_f64 v[44:45], v[44:45], v[56:57]
	v_fma_f64 v[52:53], v[54:55], s[8:9], v[58:59]
	v_fma_f64 v[56:57], v[54:55], s[10:11], v[58:59]
	;; [unrolled: 1-line block ×4, first 2 shown]
	v_add_f64 v[76:77], v[62:63], v[66:67]
	v_add_f64 v[13:14], v[60:61], v[64:65]
	v_fma_f64 v[76:77], v[76:77], -0.5, v[50:51]
	v_add_f64 v[50:51], v[50:51], v[62:63]
	v_fma_f64 v[13:14], v[13:14], -0.5, v[48:49]
	v_add_f64 v[48:49], v[48:49], v[60:61]
	v_add_f64 v[62:63], v[62:63], -v[66:67]
	v_add_f64 v[50:51], v[50:51], v[66:67]
	v_add_f64 v[66:67], v[60:61], -v[64:65]
	v_add_f64 v[48:49], v[48:49], v[64:65]
	v_fma_f64 v[60:61], v[62:63], s[8:9], v[13:14]
	v_fma_f64 v[64:65], v[62:63], s[10:11], v[13:14]
	v_add_f64 v[13:14], v[68:69], v[72:73]
	v_fma_f64 v[62:63], v[66:67], s[10:11], v[76:77]
	v_fma_f64 v[66:67], v[66:67], s[8:9], v[76:77]
	v_add_f64 v[76:77], v[70:71], v[74:75]
	v_fma_f64 v[13:14], v[13:14], -0.5, v[0:1]
	v_add_f64 v[0:1], v[0:1], v[68:69]
	v_fma_f64 v[76:77], v[76:77], -0.5, v[2:3]
	v_add_f64 v[2:3], v[2:3], v[70:71]
	v_add_f64 v[70:71], v[70:71], -v[74:75]
	v_add_f64 v[0:1], v[0:1], v[72:73]
	v_add_f64 v[2:3], v[2:3], v[74:75]
	v_add_f64 v[74:75], v[68:69], -v[72:73]
	v_fma_f64 v[68:69], v[70:71], s[8:9], v[13:14]
	v_fma_f64 v[72:73], v[70:71], s[10:11], v[13:14]
	v_mov_b32_e32 v13, 0x510
	v_cndmask_b32_e32 v13, 0, v13, vcc
	v_add_lshl_u32 v121, v4, v13, 4
	v_mad_legacy_u16 v4, v5, s3, v12
	v_lshlrev_b32_e32 v122, 4, v4
	v_fma_f64 v[70:71], v[74:75], s[10:11], v[76:77]
	v_fma_f64 v[74:75], v[74:75], s[8:9], v[76:77]
	v_lshlrev_b32_e32 v4, 4, v15
	s_movk_i32 s3, 0x5000
	ds_write_b128 v121, v[44:47]
	ds_write_b128 v121, v[52:55] offset:6912
	ds_write_b128 v121, v[56:59] offset:13824
	ds_write_b128 v122, v[48:51]
	ds_write_b128 v122, v[60:63] offset:6912
	ds_write_b128 v122, v[64:67] offset:13824
	;; [unrolled: 1-line block ×4, first 2 shown]
	v_add_co_u32_e32 v0, vcc, s3, v10
	v_addc_co_u32_e32 v1, vcc, 0, v11, vcc
	buffer_store_dword v4, off, s[24:27], 0 offset:380 ; 4-byte Folded Spill
	ds_write_b128 v4, v[72:75] offset:55296
	s_waitcnt vmcnt(0) lgkmcnt(0)
	s_barrier
	global_load_dwordx4 v[14:17], v[0:1], off
	global_load_dwordx4 v[10:13], v[0:1], off offset:16
	ds_read_b128 v[0:3], v86 offset:20736
	ds_read_b128 v[68:71], v86 offset:15552
	s_waitcnt vmcnt(1) lgkmcnt(1)
	v_mul_f64 v[4:5], v[2:3], v[16:17]
	v_fma_f64 v[40:41], v[0:1], v[14:15], -v[4:5]
	v_mul_f64 v[0:1], v[0:1], v[16:17]
	buffer_store_dword v14, off, s[24:27], 0 offset:432 ; 4-byte Folded Spill
	s_nop 0
	buffer_store_dword v15, off, s[24:27], 0 offset:436 ; 4-byte Folded Spill
	buffer_store_dword v16, off, s[24:27], 0 offset:440 ; 4-byte Folded Spill
	;; [unrolled: 1-line block ×3, first 2 shown]
	v_fma_f64 v[42:43], v[2:3], v[14:15], v[0:1]
	ds_read_b128 v[0:3], v86 offset:41472
	ds_read_b128 v[32:35], v86 offset:36288
	s_waitcnt vmcnt(4) lgkmcnt(1)
	v_mul_f64 v[4:5], v[2:3], v[12:13]
	v_fma_f64 v[44:45], v[0:1], v[10:11], -v[4:5]
	v_mul_f64 v[0:1], v[0:1], v[12:13]
	buffer_store_dword v10, off, s[24:27], 0 offset:384 ; 4-byte Folded Spill
	s_nop 0
	buffer_store_dword v11, off, s[24:27], 0 offset:388 ; 4-byte Folded Spill
	buffer_store_dword v12, off, s[24:27], 0 offset:392 ; 4-byte Folded Spill
	;; [unrolled: 1-line block ×3, first 2 shown]
	v_fma_f64 v[46:47], v[2:3], v[10:11], v[0:1]
	v_lshlrev_b32_e32 v0, 5, v7
	v_add_co_u32_e32 v0, vcc, s2, v0
	v_addc_co_u32_e32 v1, vcc, 0, v9, vcc
	v_add_co_u32_e32 v0, vcc, s3, v0
	v_addc_co_u32_e32 v1, vcc, 0, v1, vcc
	global_load_dwordx4 v[18:21], v[0:1], off
	global_load_dwordx4 v[14:17], v[0:1], off offset:16
	ds_read_b128 v[0:3], v86 offset:25920
	ds_read_b128 v[10:13], v86 offset:31104
	s_waitcnt vmcnt(1) lgkmcnt(1)
	v_mul_f64 v[4:5], v[2:3], v[20:21]
	v_fma_f64 v[48:49], v[0:1], v[18:19], -v[4:5]
	v_mul_f64 v[0:1], v[0:1], v[20:21]
	buffer_store_dword v18, off, s[24:27], 0 offset:496 ; 4-byte Folded Spill
	s_nop 0
	buffer_store_dword v19, off, s[24:27], 0 offset:500 ; 4-byte Folded Spill
	buffer_store_dword v20, off, s[24:27], 0 offset:504 ; 4-byte Folded Spill
	;; [unrolled: 1-line block ×3, first 2 shown]
	v_fma_f64 v[50:51], v[2:3], v[18:19], v[0:1]
	ds_read_b128 v[0:3], v86 offset:46656
	ds_read_b128 v[36:39], v86 offset:51840
	s_waitcnt vmcnt(4) lgkmcnt(1)
	v_mul_f64 v[4:5], v[2:3], v[16:17]
	v_fma_f64 v[60:61], v[0:1], v[14:15], -v[4:5]
	v_mul_f64 v[0:1], v[0:1], v[16:17]
	buffer_store_dword v14, off, s[24:27], 0 offset:464 ; 4-byte Folded Spill
	s_nop 0
	buffer_store_dword v15, off, s[24:27], 0 offset:468 ; 4-byte Folded Spill
	buffer_store_dword v16, off, s[24:27], 0 offset:472 ; 4-byte Folded Spill
	buffer_store_dword v17, off, s[24:27], 0 offset:476 ; 4-byte Folded Spill
	v_fma_f64 v[62:63], v[2:3], v[14:15], v[0:1]
	v_lshlrev_b32_e32 v0, 5, v6
	v_add_co_u32_e32 v0, vcc, s2, v0
	v_addc_co_u32_e32 v1, vcc, 0, v9, vcc
	v_add_co_u32_e32 v0, vcc, s3, v0
	v_addc_co_u32_e32 v1, vcc, 0, v1, vcc
	global_load_dwordx4 v[4:7], v[0:1], off
	s_nop 0
	global_load_dwordx4 v[0:3], v[0:1], off offset:16
	v_add_co_u32_e32 v8, vcc, s2, v8
	v_addc_co_u32_e32 v9, vcc, 0, v9, vcc
	v_add_co_u32_e32 v8, vcc, s3, v8
	v_addc_co_u32_e32 v9, vcc, 0, v9, vcc
	s_waitcnt vmcnt(1)
	v_mul_f64 v[14:15], v[12:13], v[6:7]
	v_fma_f64 v[64:65], v[10:11], v[4:5], -v[14:15]
	v_mul_f64 v[10:11], v[10:11], v[6:7]
	buffer_store_dword v4, off, s[24:27], 0 offset:544 ; 4-byte Folded Spill
	s_nop 0
	buffer_store_dword v5, off, s[24:27], 0 offset:548 ; 4-byte Folded Spill
	buffer_store_dword v6, off, s[24:27], 0 offset:552 ; 4-byte Folded Spill
	;; [unrolled: 1-line block ×3, first 2 shown]
	v_fma_f64 v[66:67], v[12:13], v[4:5], v[10:11]
	s_waitcnt vmcnt(4) lgkmcnt(0)
	v_mul_f64 v[10:11], v[38:39], v[2:3]
	v_fma_f64 v[72:73], v[36:37], v[0:1], -v[10:11]
	v_mul_f64 v[10:11], v[36:37], v[2:3]
	buffer_store_dword v0, off, s[24:27], 0 offset:528 ; 4-byte Folded Spill
	s_nop 0
	buffer_store_dword v1, off, s[24:27], 0 offset:532 ; 4-byte Folded Spill
	buffer_store_dword v2, off, s[24:27], 0 offset:536 ; 4-byte Folded Spill
	;; [unrolled: 1-line block ×3, first 2 shown]
	v_fma_f64 v[74:75], v[38:39], v[0:1], v[10:11]
	global_load_dwordx4 v[4:7], v[8:9], off
	global_load_dwordx4 v[0:3], v[8:9], off offset:16
	s_waitcnt vmcnt(1)
	v_mul_f64 v[36:37], v[34:35], v[6:7]
	v_fma_f64 v[76:77], v[32:33], v[4:5], -v[36:37]
	v_mul_f64 v[32:33], v[32:33], v[6:7]
	buffer_store_dword v4, off, s[24:27], 0 offset:576 ; 4-byte Folded Spill
	s_nop 0
	buffer_store_dword v5, off, s[24:27], 0 offset:580 ; 4-byte Folded Spill
	buffer_store_dword v6, off, s[24:27], 0 offset:584 ; 4-byte Folded Spill
	;; [unrolled: 1-line block ×3, first 2 shown]
	v_fma_f64 v[78:79], v[34:35], v[4:5], v[32:33]
	ds_read_b128 v[32:35], v86 offset:57024
	ds_read_b128 v[36:39], v86
	s_waitcnt vmcnt(4) lgkmcnt(1)
	v_mul_f64 v[52:53], v[34:35], v[2:3]
	v_fma_f64 v[80:81], v[32:33], v[0:1], -v[52:53]
	v_mul_f64 v[32:33], v[32:33], v[2:3]
	buffer_store_dword v0, off, s[24:27], 0 offset:560 ; 4-byte Folded Spill
	s_nop 0
	buffer_store_dword v1, off, s[24:27], 0 offset:564 ; 4-byte Folded Spill
	buffer_store_dword v2, off, s[24:27], 0 offset:568 ; 4-byte Folded Spill
	;; [unrolled: 1-line block ×3, first 2 shown]
	v_fma_f64 v[82:83], v[34:35], v[0:1], v[32:33]
	v_add_f64 v[32:33], v[40:41], v[44:45]
	v_add_f64 v[34:35], v[42:43], v[46:47]
	s_waitcnt lgkmcnt(0)
	v_fma_f64 v[32:33], v[32:33], -0.5, v[36:37]
	v_add_f64 v[36:37], v[36:37], v[40:41]
	v_fma_f64 v[34:35], v[34:35], -0.5, v[38:39]
	v_add_f64 v[38:39], v[38:39], v[42:43]
	v_add_f64 v[42:43], v[42:43], -v[46:47]
	v_add_f64 v[40:41], v[40:41], -v[44:45]
	v_add_f64 v[56:57], v[36:37], v[44:45]
	v_add_f64 v[44:45], v[48:49], v[60:61]
	;; [unrolled: 1-line block ×3, first 2 shown]
	v_fma_f64 v[36:37], v[42:43], s[8:9], v[32:33]
	v_fma_f64 v[32:33], v[42:43], s[10:11], v[32:33]
	;; [unrolled: 1-line block ×4, first 2 shown]
	ds_read_b128 v[40:43], v86 offset:5184
	ds_read_b128 v[52:55], v86 offset:10368
	s_waitcnt lgkmcnt(1)
	v_fma_f64 v[92:93], v[44:45], -0.5, v[40:41]
	v_add_f64 v[44:45], v[50:51], v[62:63]
	v_add_f64 v[40:41], v[40:41], v[48:49]
	v_fma_f64 v[94:95], v[44:45], -0.5, v[42:43]
	v_add_f64 v[42:43], v[42:43], v[50:51]
	v_add_f64 v[50:51], v[50:51], -v[62:63]
	v_add_f64 v[44:45], v[40:41], v[60:61]
	v_add_f64 v[60:61], v[48:49], -v[60:61]
	v_add_f64 v[46:47], v[42:43], v[62:63]
	v_fma_f64 v[40:41], v[50:51], s[8:9], v[92:93]
	v_fma_f64 v[48:49], v[50:51], s[10:11], v[92:93]
	;; [unrolled: 1-line block ×4, first 2 shown]
	v_add_f64 v[60:61], v[64:65], v[72:73]
	s_waitcnt lgkmcnt(0)
	v_fma_f64 v[62:63], v[60:61], -0.5, v[52:53]
	v_add_f64 v[60:61], v[66:67], v[74:75]
	v_add_f64 v[52:53], v[52:53], v[64:65]
	v_fma_f64 v[92:93], v[60:61], -0.5, v[54:55]
	v_add_f64 v[54:55], v[54:55], v[66:67]
	v_add_f64 v[66:67], v[66:67], -v[74:75]
	v_add_f64 v[52:53], v[52:53], v[72:73]
	v_add_f64 v[72:73], v[64:65], -v[72:73]
	v_add_f64 v[54:55], v[54:55], v[74:75]
	v_fma_f64 v[60:61], v[66:67], s[8:9], v[62:63]
	v_fma_f64 v[64:65], v[66:67], s[10:11], v[62:63]
	;; [unrolled: 1-line block ×4, first 2 shown]
	v_add_f64 v[72:73], v[76:77], v[80:81]
	v_fma_f64 v[74:75], v[72:73], -0.5, v[68:69]
	v_add_f64 v[72:73], v[78:79], v[82:83]
	v_add_f64 v[68:69], v[68:69], v[76:77]
	v_fma_f64 v[92:93], v[72:73], -0.5, v[70:71]
	v_add_f64 v[70:71], v[70:71], v[78:79]
	v_add_f64 v[78:79], v[78:79], -v[82:83]
	v_add_f64 v[68:69], v[68:69], v[80:81]
	v_add_f64 v[80:81], v[76:77], -v[80:81]
	v_add_f64 v[70:71], v[70:71], v[82:83]
	v_fma_f64 v[72:73], v[78:79], s[8:9], v[74:75]
	v_fma_f64 v[76:77], v[78:79], s[10:11], v[74:75]
	;; [unrolled: 1-line block ×4, first 2 shown]
	ds_write_b128 v86, v[56:59]
	ds_write_b128 v86, v[36:39] offset:20736
	ds_write_b128 v86, v[32:35] offset:41472
	;; [unrolled: 1-line block ×11, first 2 shown]
	s_waitcnt vmcnt(0) lgkmcnt(0)
	s_barrier
	s_and_saveexec_b64 s[2:3], s[0:1]
	s_cbranch_execz .LBB0_9
; %bb.8:
	v_mov_b32_e32 v0, v85
	v_add_co_u32_e32 v85, vcc, s14, v0
	v_mov_b32_e32 v80, s15
	v_addc_co_u32_e32 v87, vcc, 0, v80, vcc
	v_add_co_u32_e32 v100, vcc, 0xf300, v85
	v_addc_co_u32_e32 v101, vcc, 0, v87, vcc
	v_add_co_u32_e32 v92, vcc, 0xf000, v85
	v_addc_co_u32_e32 v93, vcc, 0, v87, vcc
	global_load_dwordx4 v[92:95], v[92:93], off offset:768
	ds_read_b128 v[80:83], v86
	s_mov_b32 s8, 0x11000
	s_waitcnt vmcnt(0) lgkmcnt(0)
	v_mul_f64 v[96:97], v[82:83], v[94:95]
	v_fma_f64 v[96:97], v[80:81], v[92:93], -v[96:97]
	v_mul_f64 v[80:81], v[80:81], v[94:95]
	v_fma_f64 v[98:99], v[82:83], v[92:93], v[80:81]
	global_load_dwordx4 v[92:95], v[100:101], off offset:3888
	ds_write_b128 v86, v[96:99]
	ds_read_b128 v[80:83], v0 offset:3888
	s_waitcnt vmcnt(0) lgkmcnt(0)
	v_mul_f64 v[96:97], v[82:83], v[94:95]
	v_fma_f64 v[96:97], v[80:81], v[92:93], -v[96:97]
	v_mul_f64 v[80:81], v[80:81], v[94:95]
	v_fma_f64 v[98:99], v[82:83], v[92:93], v[80:81]
	v_add_co_u32_e32 v92, vcc, s8, v85
	v_addc_co_u32_e32 v93, vcc, 0, v87, vcc
	global_load_dwordx4 v[92:95], v[92:93], off offset:352
	ds_read_b128 v[80:83], v0 offset:7776
	s_mov_b32 s8, 0x12000
	ds_write_b128 v0, v[96:99] offset:3888
	v_add_co_u32_e32 v100, vcc, s8, v85
	v_addc_co_u32_e32 v101, vcc, 0, v87, vcc
	s_mov_b32 s8, 0x13000
	s_waitcnt vmcnt(0) lgkmcnt(1)
	v_mul_f64 v[96:97], v[82:83], v[94:95]
	v_fma_f64 v[96:97], v[80:81], v[92:93], -v[96:97]
	v_mul_f64 v[80:81], v[80:81], v[94:95]
	v_fma_f64 v[98:99], v[82:83], v[92:93], v[80:81]
	global_load_dwordx4 v[92:95], v[100:101], off offset:144
	ds_read_b128 v[80:83], v0 offset:11664
	ds_write_b128 v0, v[96:99] offset:7776
	s_waitcnt vmcnt(0) lgkmcnt(1)
	v_mul_f64 v[96:97], v[82:83], v[94:95]
	v_fma_f64 v[96:97], v[80:81], v[92:93], -v[96:97]
	v_mul_f64 v[80:81], v[80:81], v[94:95]
	v_fma_f64 v[98:99], v[82:83], v[92:93], v[80:81]
	global_load_dwordx4 v[92:95], v[100:101], off offset:4032
	ds_write_b128 v0, v[96:99] offset:11664
	ds_read_b128 v[80:83], v86 offset:15552
	s_waitcnt vmcnt(0) lgkmcnt(0)
	v_mul_f64 v[96:97], v[82:83], v[94:95]
	v_fma_f64 v[96:97], v[80:81], v[92:93], -v[96:97]
	v_mul_f64 v[80:81], v[80:81], v[94:95]
	v_fma_f64 v[98:99], v[82:83], v[92:93], v[80:81]
	v_add_co_u32_e32 v92, vcc, s8, v85
	v_addc_co_u32_e32 v93, vcc, 0, v87, vcc
	global_load_dwordx4 v[92:95], v[92:93], off offset:3824
	s_mov_b32 s8, 0x14000
	ds_write_b128 v86, v[96:99] offset:15552
	ds_read_b128 v[80:83], v0 offset:19440
	s_waitcnt vmcnt(0) lgkmcnt(0)
	v_mul_f64 v[96:97], v[82:83], v[94:95]
	v_fma_f64 v[96:97], v[80:81], v[92:93], -v[96:97]
	v_mul_f64 v[80:81], v[80:81], v[94:95]
	v_fma_f64 v[98:99], v[82:83], v[92:93], v[80:81]
	v_add_co_u32_e32 v92, vcc, s8, v85
	v_addc_co_u32_e32 v93, vcc, 0, v87, vcc
	global_load_dwordx4 v[92:95], v[92:93], off offset:3616
	ds_read_b128 v[80:83], v0 offset:23328
	s_mov_b32 s8, 0x15000
	ds_write_b128 v0, v[96:99] offset:19440
	s_waitcnt vmcnt(0) lgkmcnt(1)
	v_mul_f64 v[96:97], v[82:83], v[94:95]
	v_fma_f64 v[96:97], v[80:81], v[92:93], -v[96:97]
	v_mul_f64 v[80:81], v[80:81], v[94:95]
	v_fma_f64 v[98:99], v[82:83], v[92:93], v[80:81]
	v_add_co_u32_e32 v92, vcc, s8, v85
	v_addc_co_u32_e32 v93, vcc, 0, v87, vcc
	global_load_dwordx4 v[92:95], v[92:93], off offset:3408
	ds_read_b128 v[80:83], v0 offset:27216
	s_mov_b32 s8, 0x16000
	ds_write_b128 v0, v[96:99] offset:23328
	s_waitcnt vmcnt(0) lgkmcnt(1)
	v_mul_f64 v[96:97], v[82:83], v[94:95]
	v_fma_f64 v[96:97], v[80:81], v[92:93], -v[96:97]
	v_mul_f64 v[80:81], v[80:81], v[94:95]
	v_fma_f64 v[98:99], v[82:83], v[92:93], v[80:81]
	v_add_co_u32_e32 v92, vcc, s8, v85
	v_addc_co_u32_e32 v93, vcc, 0, v87, vcc
	global_load_dwordx4 v[92:95], v[92:93], off offset:3200
	s_mov_b32 s8, 0x17000
	ds_write_b128 v0, v[96:99] offset:27216
	ds_read_b128 v[80:83], v86 offset:31104
	s_waitcnt vmcnt(0) lgkmcnt(0)
	v_mul_f64 v[96:97], v[82:83], v[94:95]
	v_fma_f64 v[96:97], v[80:81], v[92:93], -v[96:97]
	v_mul_f64 v[80:81], v[80:81], v[94:95]
	v_fma_f64 v[98:99], v[82:83], v[92:93], v[80:81]
	v_add_co_u32_e32 v92, vcc, s8, v85
	v_addc_co_u32_e32 v93, vcc, 0, v87, vcc
	global_load_dwordx4 v[92:95], v[92:93], off offset:2992
	s_mov_b32 s8, 0x18000
	ds_write_b128 v86, v[96:99] offset:31104
	ds_read_b128 v[80:83], v0 offset:34992
	s_waitcnt vmcnt(0) lgkmcnt(0)
	v_mul_f64 v[96:97], v[82:83], v[94:95]
	v_fma_f64 v[96:97], v[80:81], v[92:93], -v[96:97]
	v_mul_f64 v[80:81], v[80:81], v[94:95]
	v_fma_f64 v[98:99], v[82:83], v[92:93], v[80:81]
	v_add_co_u32_e32 v92, vcc, s8, v85
	v_addc_co_u32_e32 v93, vcc, 0, v87, vcc
	global_load_dwordx4 v[92:95], v[92:93], off offset:2784
	ds_read_b128 v[80:83], v0 offset:38880
	s_mov_b32 s8, 0x19000
	ds_write_b128 v0, v[96:99] offset:34992
	s_waitcnt vmcnt(0) lgkmcnt(1)
	v_mul_f64 v[96:97], v[82:83], v[94:95]
	v_fma_f64 v[96:97], v[80:81], v[92:93], -v[96:97]
	v_mul_f64 v[80:81], v[80:81], v[94:95]
	v_fma_f64 v[98:99], v[82:83], v[92:93], v[80:81]
	v_add_co_u32_e32 v92, vcc, s8, v85
	v_addc_co_u32_e32 v93, vcc, 0, v87, vcc
	global_load_dwordx4 v[92:95], v[92:93], off offset:2576
	ds_read_b128 v[80:83], v0 offset:42768
	s_mov_b32 s8, 0x1a000
	ds_write_b128 v0, v[96:99] offset:38880
	s_waitcnt vmcnt(0) lgkmcnt(1)
	v_mul_f64 v[96:97], v[82:83], v[94:95]
	v_fma_f64 v[96:97], v[80:81], v[92:93], -v[96:97]
	v_mul_f64 v[80:81], v[80:81], v[94:95]
	v_fma_f64 v[98:99], v[82:83], v[92:93], v[80:81]
	v_add_co_u32_e32 v92, vcc, s8, v85
	v_addc_co_u32_e32 v93, vcc, 0, v87, vcc
	global_load_dwordx4 v[92:95], v[92:93], off offset:2368
	s_mov_b32 s8, 0x1b000
	ds_write_b128 v0, v[96:99] offset:42768
	ds_read_b128 v[80:83], v86 offset:46656
	s_waitcnt vmcnt(0) lgkmcnt(0)
	v_mul_f64 v[96:97], v[82:83], v[94:95]
	v_fma_f64 v[96:97], v[80:81], v[92:93], -v[96:97]
	v_mul_f64 v[80:81], v[80:81], v[94:95]
	v_fma_f64 v[98:99], v[82:83], v[92:93], v[80:81]
	v_add_co_u32_e32 v92, vcc, s8, v85
	v_addc_co_u32_e32 v93, vcc, 0, v87, vcc
	global_load_dwordx4 v[92:95], v[92:93], off offset:2160
	s_mov_b32 s8, 0x1c000
	ds_write_b128 v86, v[96:99] offset:46656
	ds_read_b128 v[80:83], v0 offset:50544
	s_waitcnt vmcnt(0) lgkmcnt(0)
	v_mul_f64 v[96:97], v[82:83], v[94:95]
	v_fma_f64 v[96:97], v[80:81], v[92:93], -v[96:97]
	v_mul_f64 v[80:81], v[80:81], v[94:95]
	v_fma_f64 v[98:99], v[82:83], v[92:93], v[80:81]
	v_add_co_u32_e32 v92, vcc, s8, v85
	v_addc_co_u32_e32 v93, vcc, 0, v87, vcc
	global_load_dwordx4 v[92:95], v[92:93], off offset:1952
	ds_read_b128 v[80:83], v0 offset:54432
	s_mov_b32 s8, 0x1d000
	ds_write_b128 v0, v[96:99] offset:50544
	s_waitcnt vmcnt(0) lgkmcnt(1)
	v_mul_f64 v[96:97], v[82:83], v[94:95]
	v_fma_f64 v[96:97], v[80:81], v[92:93], -v[96:97]
	v_mul_f64 v[80:81], v[80:81], v[94:95]
	v_fma_f64 v[98:99], v[82:83], v[92:93], v[80:81]
	v_add_co_u32_e32 v92, vcc, s8, v85
	v_addc_co_u32_e32 v93, vcc, 0, v87, vcc
	global_load_dwordx4 v[92:95], v[92:93], off offset:1744
	ds_read_b128 v[80:83], v0 offset:58320
	v_mov_b32_e32 v85, v0
	ds_write_b128 v0, v[96:99] offset:54432
	s_waitcnt vmcnt(0) lgkmcnt(1)
	v_mul_f64 v[96:97], v[82:83], v[94:95]
	v_fma_f64 v[96:97], v[80:81], v[92:93], -v[96:97]
	v_mul_f64 v[80:81], v[80:81], v[94:95]
	v_fma_f64 v[98:99], v[82:83], v[92:93], v[80:81]
	ds_write_b128 v0, v[96:99] offset:58320
.LBB0_9:
	s_or_b64 exec, exec, s[2:3]
	s_waitcnt lgkmcnt(0)
	s_barrier
	s_and_saveexec_b64 s[2:3], s[0:1]
	s_cbranch_execz .LBB0_11
; %bb.10:
	ds_read_b128 v[36:39], v86 offset:3888
	ds_read_b128 v[32:35], v86 offset:7776
	;; [unrolled: 1-line block ×12, first 2 shown]
	s_waitcnt lgkmcnt(0)
	buffer_store_dword v0, off, s[24:27], 0 offset:8 ; 4-byte Folded Spill
	s_nop 0
	buffer_store_dword v1, off, s[24:27], 0 offset:12 ; 4-byte Folded Spill
	buffer_store_dword v2, off, s[24:27], 0 offset:16 ; 4-byte Folded Spill
	;; [unrolled: 1-line block ×3, first 2 shown]
	ds_read_b128 v[0:3], v86 offset:50544
	s_waitcnt lgkmcnt(0)
	buffer_store_dword v0, off, s[24:27], 0 offset:24 ; 4-byte Folded Spill
	s_nop 0
	buffer_store_dword v1, off, s[24:27], 0 offset:28 ; 4-byte Folded Spill
	buffer_store_dword v2, off, s[24:27], 0 offset:32 ; 4-byte Folded Spill
	;; [unrolled: 1-line block ×3, first 2 shown]
	ds_read_b128 v[0:3], v86 offset:54432
	s_waitcnt lgkmcnt(0)
	buffer_store_dword v0, off, s[24:27], 0 offset:40 ; 4-byte Folded Spill
	s_nop 0
	buffer_store_dword v1, off, s[24:27], 0 offset:44 ; 4-byte Folded Spill
	buffer_store_dword v2, off, s[24:27], 0 offset:48 ; 4-byte Folded Spill
	;; [unrolled: 1-line block ×3, first 2 shown]
	ds_read_b128 v[56:59], v86
	ds_read_b128 v[0:3], v86 offset:58320
	s_waitcnt lgkmcnt(0)
	buffer_store_dword v0, off, s[24:27], 0 offset:56 ; 4-byte Folded Spill
	s_nop 0
	buffer_store_dword v1, off, s[24:27], 0 offset:60 ; 4-byte Folded Spill
	buffer_store_dword v2, off, s[24:27], 0 offset:64 ; 4-byte Folded Spill
	;; [unrolled: 1-line block ×3, first 2 shown]
.LBB0_11:
	s_or_b64 exec, exec, s[2:3]
	s_waitcnt vmcnt(0)
	s_barrier
	s_and_saveexec_b64 s[2:3], s[0:1]
	s_cbranch_execz .LBB0_13
; %bb.12:
	buffer_load_dword v2, off, s[24:27], 0 offset:40 ; 4-byte Folded Reload
	buffer_load_dword v3, off, s[24:27], 0 offset:44 ; 4-byte Folded Reload
	;; [unrolled: 1-line block ×4, first 2 shown]
	v_mov_b32_e32 v20, v123
	v_add_f64 v[72:73], v[32:33], -v[72:73]
	v_mov_b32_e32 v21, v124
	v_mov_b32_e32 v22, v125
	;; [unrolled: 1-line block ×4, first 2 shown]
	v_add_f64 v[124:125], v[56:57], -v[64:65]
	v_mov_b32_e32 v12, v112
	v_add_f64 v[74:75], v[34:35], -v[74:75]
	v_add_f64 v[66:67], v[58:59], -v[66:67]
	;; [unrolled: 1-line block ×4, first 2 shown]
	v_mov_b32_e32 v13, v113
	v_mov_b32_e32 v14, v114
	;; [unrolled: 1-line block ×4, first 2 shown]
	s_mov_b32 s8, 0x667f3bcd
	s_mov_b32 s9, 0x3fe6a09e
	v_mov_b32_e32 v27, v102
	v_add_f64 v[76:77], v[44:45], -v[76:77]
	v_add_f64 v[68:69], v[36:37], -v[68:69]
	v_mov_b32_e32 v16, v117
	v_mov_b32_e32 v17, v118
	;; [unrolled: 1-line block ×4, first 2 shown]
	v_fma_f64 v[58:59], v[58:59], 2.0, -v[66:67]
	v_fma_f64 v[32:33], v[32:33], 2.0, -v[72:73]
	;; [unrolled: 1-line block ×5, first 2 shown]
	s_mov_b32 s11, 0xbfe6a09e
	s_mov_b32 s10, s8
	v_mov_b32_e32 v25, v121
	v_fma_f64 v[34:35], v[34:35], 2.0, -v[74:75]
	v_fma_f64 v[56:57], v[56:57], 2.0, -v[124:125]
	s_mov_b32 s16, 0xcf328d46
	s_mov_b32 s18, 0xa6aea964
	;; [unrolled: 1-line block ×8, first 2 shown]
	s_waitcnt vmcnt(2)
	v_add_f64 v[80:81], v[52:53], -v[2:3]
	buffer_load_dword v0, off, s[24:27], 0 offset:8 ; 4-byte Folded Reload
	buffer_load_dword v1, off, s[24:27], 0 offset:12 ; 4-byte Folded Reload
	;; [unrolled: 1-line block ×8, first 2 shown]
	s_waitcnt vmcnt(8)
	v_add_f64 v[100:101], v[54:55], -v[4:5]
	v_add_f64 v[94:95], v[74:75], -v[80:81]
	v_fma_f64 v[52:53], v[52:53], 2.0, -v[80:81]
	v_fma_f64 v[80:81], v[38:39], 2.0, -v[70:71]
	v_add_f64 v[112:113], v[100:101], v[72:73]
	v_fma_f64 v[54:55], v[54:55], 2.0, -v[100:101]
	v_fma_f64 v[72:73], v[72:73], 2.0, -v[112:113]
	v_add_f64 v[54:55], v[34:35], -v[54:55]
	s_waitcnt vmcnt(4)
	v_add_f64 v[122:123], v[42:43], -v[2:3]
	s_waitcnt vmcnt(2)
	v_add_f64 v[92:93], v[60:61], -v[8:9]
	buffer_load_dword v6, off, s[24:27], 0 offset:24 ; 4-byte Folded Reload
	buffer_load_dword v7, off, s[24:27], 0 offset:28 ; 4-byte Folded Reload
	;; [unrolled: 1-line block ×4, first 2 shown]
	v_add_f64 v[82:83], v[40:41], -v[0:1]
	buffer_store_dword v107, off, s[24:27], 0 offset:24 ; 4-byte Folded Spill
	buffer_store_dword v108, off, s[24:27], 0 offset:40 ; 4-byte Folded Spill
	v_mov_b32_e32 v2, v88
	buffer_store_dword v116, off, s[24:27], 0 offset:56 ; 4-byte Folded Spill
	v_add_f64 v[126:127], v[124:125], v[122:123]
	v_fma_f64 v[42:43], v[42:43], 2.0, -v[122:123]
	v_fma_f64 v[60:61], v[60:61], 2.0, -v[92:93]
	v_add_f64 v[96:97], v[66:67], -v[82:83]
	v_mov_b32_e32 v3, v89
	v_mov_b32_e32 v1, v90
	v_fma_f64 v[40:41], v[40:41], 2.0, -v[82:83]
	v_fma_f64 v[87:88], v[112:113], s[8:9], v[126:127]
	v_add_f64 v[89:90], v[58:59], -v[42:43]
	v_add_f64 v[42:43], v[32:33], -v[52:53]
	v_fma_f64 v[66:67], v[66:67], 2.0, -v[96:97]
	v_fma_f64 v[100:101], v[124:125], 2.0, -v[126:127]
	v_fma_f64 v[87:88], v[94:95], s[8:9], v[87:88]
	v_fma_f64 v[32:33], v[32:33], 2.0, -v[42:43]
	s_waitcnt vmcnt(5)
	v_add_f64 v[98:99], v[48:49], -v[6:7]
	v_mov_b32_e32 v4, v103
	v_mov_b32_e32 v5, v104
	;; [unrolled: 1-line block ×4, first 2 shown]
	v_add_f64 v[102:103], v[62:63], -v[10:11]
	s_waitcnt vmcnt(3)
	v_add_f64 v[104:105], v[50:51], -v[8:9]
	v_add_f64 v[106:107], v[78:79], -v[92:93]
	v_mov_b32_e32 v11, v109
	v_add_f64 v[108:109], v[70:71], -v[98:99]
	v_mov_b32_e32 v10, v110
	v_mov_b32_e32 v9, v111
	v_fma_f64 v[110:111], v[94:95], s[8:9], v[96:97]
	v_add_f64 v[114:115], v[102:103], v[76:77]
	v_add_f64 v[116:117], v[104:105], v[68:69]
	v_fma_f64 v[50:51], v[50:51], 2.0, -v[104:105]
	v_fma_f64 v[48:49], v[48:49], 2.0, -v[98:99]
	v_fma_f64 v[93:94], v[74:75], 2.0, -v[94:95]
	v_fma_f64 v[70:71], v[70:71], 2.0, -v[108:109]
	v_fma_f64 v[78:79], v[78:79], 2.0, -v[106:107]
	v_fma_f64 v[118:119], v[106:107], s[8:9], v[108:109]
	v_fma_f64 v[76:77], v[76:77], 2.0, -v[114:115]
	v_fma_f64 v[120:121], v[114:115], s[8:9], v[116:117]
	v_add_f64 v[52:53], v[80:81], -v[50:51]
	v_add_f64 v[50:51], v[44:45], -v[60:61]
	v_fma_f64 v[60:61], v[62:63], 2.0, -v[102:103]
	v_add_f64 v[48:49], v[36:37], -v[48:49]
	v_fma_f64 v[74:75], v[93:94], s[10:11], v[66:67]
	v_fma_f64 v[82:83], v[78:79], s[10:11], v[70:71]
	v_fma_f64 v[68:69], v[68:69], 2.0, -v[116:117]
	v_fma_f64 v[110:111], v[112:113], s[10:11], v[110:111]
	v_fma_f64 v[120:121], v[106:107], s[8:9], v[120:121]
	v_mov_b32_e32 v8, v91
	v_add_f64 v[91:92], v[89:90], -v[42:43]
	v_add_f64 v[98:99], v[52:53], -v[50:51]
	;; [unrolled: 1-line block ×4, first 2 shown]
	v_fma_f64 v[74:75], v[72:73], s[10:11], v[74:75]
	v_fma_f64 v[82:83], v[76:77], s[10:11], v[82:83]
	v_fma_f64 v[40:41], v[76:77], s[10:11], v[68:69]
	v_fma_f64 v[72:73], v[72:73], s[10:11], v[100:101]
	v_fma_f64 v[112:113], v[36:37], 2.0, -v[48:49]
	v_fma_f64 v[36:37], v[44:45], 2.0, -v[50:51]
	v_fma_f64 v[118:119], v[114:115], s[10:11], v[118:119]
	v_fma_f64 v[62:63], v[120:121], s[16:17], v[87:88]
	;; [unrolled: 1-line block ×3, first 2 shown]
	v_add_f64 v[104:105], v[60:61], v[48:49]
	v_fma_f64 v[76:77], v[58:59], 2.0, -v[89:90]
	v_fma_f64 v[58:59], v[34:35], 2.0, -v[54:55]
	v_add_f64 v[114:115], v[106:107], v[54:55]
	v_fma_f64 v[44:45], v[82:83], s[20:21], v[74:75]
	v_fma_f64 v[78:79], v[78:79], s[8:9], v[40:41]
	;; [unrolled: 1-line block ×3, first 2 shown]
	v_add_f64 v[93:94], v[112:113], -v[36:37]
	v_fma_f64 v[56:57], v[56:57], 2.0, -v[106:107]
	v_fma_f64 v[80:81], v[80:81], 2.0, -v[52:53]
	;; [unrolled: 1-line block ×3, first 2 shown]
	v_fma_f64 v[64:65], v[118:119], s[16:17], v[110:111]
	v_fma_f64 v[62:63], v[118:119], s[20:21], v[62:63]
	;; [unrolled: 1-line block ×3, first 2 shown]
	v_add_f64 v[72:73], v[76:77], -v[58:59]
	v_fma_f64 v[40:41], v[104:105], s[8:9], v[114:115]
	v_fma_f64 v[42:43], v[78:79], s[22:23], v[44:45]
	;; [unrolled: 1-line block ×3, first 2 shown]
	v_add_f64 v[60:61], v[56:57], -v[32:33]
	v_add_f64 v[102:103], v[80:81], -v[36:37]
	v_fma_f64 v[89:90], v[89:90], 2.0, -v[91:92]
	v_fma_f64 v[52:53], v[52:53], 2.0, -v[98:99]
	v_fma_f64 v[64:65], v[120:121], s[18:19], v[64:65]
	v_add_f64 v[46:47], v[72:73], -v[93:94]
	v_fma_f64 v[95:96], v[96:97], 2.0, -v[110:111]
	v_fma_f64 v[108:109], v[108:109], 2.0, -v[118:119]
	;; [unrolled: 1-line block ×4, first 2 shown]
	v_fma_f64 v[32:33], v[98:99], s[8:9], v[40:41]
	v_fma_f64 v[54:55], v[74:75], 2.0, -v[42:43]
	v_fma_f64 v[40:41], v[82:83], s[16:17], v[44:45]
	v_fma_f64 v[91:92], v[66:67], 2.0, -v[74:75]
	v_fma_f64 v[66:67], v[70:71], 2.0, -v[82:83]
	;; [unrolled: 1-line block ×8, first 2 shown]
	v_fma_f64 v[78:79], v[52:53], s[10:11], v[89:90]
	v_fma_f64 v[100:101], v[76:77], 2.0, -v[72:73]
	v_fma_f64 v[80:81], v[80:81], 2.0, -v[102:103]
	;; [unrolled: 1-line block ×6, first 2 shown]
	v_add_f64 v[44:45], v[60:61], v[102:103]
	v_fma_f64 v[110:111], v[108:109], s[18:19], v[95:96]
	v_fma_f64 v[97:98], v[66:67], s[22:23], v[91:92]
	;; [unrolled: 1-line block ×6, first 2 shown]
	v_add_f64 v[80:81], v[100:101], -v[80:81]
	v_add_f64 v[78:79], v[56:57], -v[93:94]
	v_fma_f64 v[68:69], v[70:71], s[22:23], v[110:111]
	v_fma_f64 v[76:77], v[74:75], s[18:19], v[97:98]
	;; [unrolled: 1-line block ×5, first 2 shown]
	buffer_load_dword v108, off, s[24:27], 0 offset:40 ; 4-byte Folded Reload
	v_fma_f64 v[106:107], v[100:101], 2.0, -v[80:81]
	v_fma_f64 v[104:105], v[56:57], 2.0, -v[78:79]
	;; [unrolled: 1-line block ×3, first 2 shown]
	v_lshlrev_b32_e32 v60, 4, v27
	v_fma_f64 v[94:95], v[95:96], 2.0, -v[68:69]
	v_fma_f64 v[96:97], v[116:117], 2.0, -v[70:71]
	buffer_load_dword v116, off, s[24:27], 0 offset:56 ; 4-byte Folded Reload
	v_fma_f64 v[102:103], v[91:92], 2.0, -v[76:77]
	v_fma_f64 v[100:101], v[87:88], 2.0, -v[74:75]
	ds_write_b128 v60, v[104:107]
	buffer_load_dword v107, off, s[24:27], 0 offset:24 ; 4-byte Folded Reload
	v_fma_f64 v[98:99], v[89:90], 2.0, -v[72:73]
	v_fma_f64 v[92:93], v[82:83], 2.0, -v[66:67]
	;; [unrolled: 1-line block ×4, first 2 shown]
	v_mov_b32_e32 v120, v19
	v_mov_b32_e32 v126, v23
	;; [unrolled: 1-line block ×3, first 2 shown]
	ds_write_b128 v60, v[100:103] offset:16
	v_mov_b32_e32 v106, v7
	v_mov_b32_e32 v121, v25
	;; [unrolled: 1-line block ×23, first 2 shown]
	ds_write_b128 v60, v[96:99] offset:32
	ds_write_b128 v60, v[92:95] offset:48
	;; [unrolled: 1-line block ×14, first 2 shown]
.LBB0_13:
	s_or_b64 exec, exec, s[2:3]
	s_waitcnt vmcnt(0) lgkmcnt(0)
	s_barrier
	ds_read_b128 v[32:35], v86 offset:20736
	buffer_load_dword v0, off, s[24:27], 0 offset:72 ; 4-byte Folded Reload
	buffer_load_dword v1, off, s[24:27], 0 offset:76 ; 4-byte Folded Reload
	;; [unrolled: 1-line block ×4, first 2 shown]
	s_mov_b32 s2, 0xe8584caa
	s_mov_b32 s3, 0xbfebb67a
	;; [unrolled: 1-line block ×4, first 2 shown]
	s_waitcnt vmcnt(0) lgkmcnt(0)
	v_mul_f64 v[36:37], v[2:3], v[34:35]
	v_fma_f64 v[40:41], v[0:1], v[32:33], v[36:37]
	v_mul_f64 v[32:33], v[2:3], v[32:33]
	v_fma_f64 v[36:37], v[0:1], v[34:35], -v[32:33]
	ds_read_b128 v[32:35], v86 offset:41472
	buffer_load_dword v0, off, s[24:27], 0 offset:252 ; 4-byte Folded Reload
	buffer_load_dword v1, off, s[24:27], 0 offset:256 ; 4-byte Folded Reload
	;; [unrolled: 1-line block ×4, first 2 shown]
	s_waitcnt vmcnt(0) lgkmcnt(0)
	v_mul_f64 v[38:39], v[2:3], v[34:35]
	v_fma_f64 v[42:43], v[0:1], v[32:33], v[38:39]
	v_mul_f64 v[32:33], v[2:3], v[32:33]
	v_add_f64 v[68:69], v[40:41], v[42:43]
	v_fma_f64 v[38:39], v[0:1], v[34:35], -v[32:33]
	ds_read_b128 v[32:35], v86 offset:25920
	buffer_load_dword v0, off, s[24:27], 0 offset:124 ; 4-byte Folded Reload
	buffer_load_dword v1, off, s[24:27], 0 offset:128 ; 4-byte Folded Reload
	;; [unrolled: 1-line block ×4, first 2 shown]
	v_add_f64 v[70:71], v[36:37], v[38:39]
	v_add_f64 v[72:73], v[36:37], -v[38:39]
	s_waitcnt vmcnt(0) lgkmcnt(0)
	v_mul_f64 v[44:45], v[2:3], v[34:35]
	v_fma_f64 v[60:61], v[0:1], v[32:33], v[44:45]
	v_mul_f64 v[32:33], v[2:3], v[32:33]
	v_fma_f64 v[62:63], v[0:1], v[34:35], -v[32:33]
	ds_read_b128 v[32:35], v86 offset:46656
	buffer_load_dword v0, off, s[24:27], 0 offset:104 ; 4-byte Folded Reload
	buffer_load_dword v1, off, s[24:27], 0 offset:108 ; 4-byte Folded Reload
	buffer_load_dword v2, off, s[24:27], 0 offset:112 ; 4-byte Folded Reload
	buffer_load_dword v3, off, s[24:27], 0 offset:116 ; 4-byte Folded Reload
	s_waitcnt vmcnt(0) lgkmcnt(0)
	v_mul_f64 v[44:45], v[2:3], v[34:35]
	v_fma_f64 v[64:65], v[0:1], v[32:33], v[44:45]
	v_mul_f64 v[32:33], v[2:3], v[32:33]
	v_fma_f64 v[66:67], v[0:1], v[34:35], -v[32:33]
	ds_read_b128 v[32:35], v86 offset:31104
	buffer_load_dword v0, off, s[24:27], 0 offset:172 ; 4-byte Folded Reload
	buffer_load_dword v1, off, s[24:27], 0 offset:176 ; 4-byte Folded Reload
	buffer_load_dword v2, off, s[24:27], 0 offset:180 ; 4-byte Folded Reload
	buffer_load_dword v3, off, s[24:27], 0 offset:184 ; 4-byte Folded Reload
	;; [unrolled: 10-line block ×5, first 2 shown]
	s_waitcnt vmcnt(0) lgkmcnt(0)
	v_mul_f64 v[48:49], v[2:3], v[34:35]
	v_fma_f64 v[48:49], v[0:1], v[32:33], v[48:49]
	v_mul_f64 v[32:33], v[2:3], v[32:33]
	v_fma_f64 v[50:51], v[0:1], v[34:35], -v[32:33]
	ds_read_b128 v[32:35], v86
	s_waitcnt lgkmcnt(0)
	v_fma_f64 v[70:71], v[70:71], -0.5, v[34:35]
	v_add_f64 v[34:35], v[34:35], v[36:37]
	v_fma_f64 v[68:69], v[68:69], -0.5, v[32:33]
	v_add_f64 v[32:33], v[32:33], v[40:41]
	v_add_f64 v[38:39], v[34:35], v[38:39]
	v_add_f64 v[34:35], v[40:41], -v[42:43]
	v_add_f64 v[36:37], v[32:33], v[42:43]
	v_fma_f64 v[40:41], v[72:73], s[2:3], v[68:69]
	v_fma_f64 v[32:33], v[72:73], s[8:9], v[68:69]
	;; [unrolled: 1-line block ×4, first 2 shown]
	ds_read_b128 v[68:71], v86 offset:15552
	ds_read_b128 v[72:75], v86 offset:5184
	;; [unrolled: 1-line block ×3, first 2 shown]
	s_waitcnt lgkmcnt(0)
	s_barrier
	ds_write_b128 v111, v[36:39]
	ds_write_b128 v111, v[40:43] offset:256
	ds_write_b128 v111, v[32:35] offset:512
	v_add_f64 v[32:33], v[60:61], v[64:65]
	v_add_f64 v[36:37], v[72:73], v[60:61]
	v_add_f64 v[40:41], v[62:63], -v[66:67]
	v_add_f64 v[60:61], v[60:61], -v[64:65]
	v_fma_f64 v[38:39], v[32:33], -0.5, v[72:73]
	v_add_f64 v[32:33], v[62:63], v[66:67]
	v_fma_f64 v[42:43], v[32:33], -0.5, v[74:75]
	v_add_f64 v[32:33], v[74:75], v[62:63]
	v_add_f64 v[34:35], v[32:33], v[66:67]
	v_add_f64 v[32:33], v[36:37], v[64:65]
	v_fma_f64 v[36:37], v[40:41], s[2:3], v[38:39]
	v_fma_f64 v[40:41], v[40:41], s[8:9], v[38:39]
	v_fma_f64 v[38:39], v[60:61], s[8:9], v[42:43]
	v_fma_f64 v[42:43], v[60:61], s[2:3], v[42:43]
	ds_write_b128 v109, v[32:35]
	ds_write_b128 v109, v[36:39] offset:256
	ds_write_b128 v109, v[40:43] offset:512
	v_add_f64 v[32:33], v[52:53], v[56:57]
	v_add_f64 v[36:37], v[76:77], v[52:53]
	v_add_f64 v[40:41], v[54:55], -v[58:59]
	v_add_f64 v[52:53], v[52:53], -v[56:57]
	v_fma_f64 v[38:39], v[32:33], -0.5, v[76:77]
	v_add_f64 v[32:33], v[54:55], v[58:59]
	v_fma_f64 v[42:43], v[32:33], -0.5, v[78:79]
	v_add_f64 v[32:33], v[78:79], v[54:55]
	v_add_f64 v[34:35], v[32:33], v[58:59]
	v_add_f64 v[32:33], v[36:37], v[56:57]
	v_fma_f64 v[36:37], v[40:41], s[2:3], v[38:39]
	v_fma_f64 v[40:41], v[40:41], s[8:9], v[38:39]
	v_fma_f64 v[38:39], v[52:53], s[8:9], v[42:43]
	v_fma_f64 v[42:43], v[52:53], s[2:3], v[42:43]
	;; [unrolled: 17-line block ×3, first 2 shown]
	ds_write_b128 v88, v[32:35]
	ds_write_b128 v88, v[36:39] offset:256
	ds_write_b128 v88, v[40:43] offset:512
	s_waitcnt lgkmcnt(0)
	s_barrier
	ds_read_b128 v[32:35], v86 offset:20736
	buffer_load_dword v0, off, s[24:27], 0 offset:268 ; 4-byte Folded Reload
	buffer_load_dword v1, off, s[24:27], 0 offset:272 ; 4-byte Folded Reload
	buffer_load_dword v2, off, s[24:27], 0 offset:276 ; 4-byte Folded Reload
	buffer_load_dword v3, off, s[24:27], 0 offset:280 ; 4-byte Folded Reload
	s_waitcnt vmcnt(0) lgkmcnt(0)
	v_mul_f64 v[36:37], v[2:3], v[34:35]
	v_fma_f64 v[36:37], v[0:1], v[32:33], v[36:37]
	v_mul_f64 v[32:33], v[2:3], v[32:33]
	v_fma_f64 v[38:39], v[0:1], v[34:35], -v[32:33]
	ds_read_b128 v[32:35], v86 offset:41472
	buffer_load_dword v0, off, s[24:27], 0 offset:204 ; 4-byte Folded Reload
	buffer_load_dword v1, off, s[24:27], 0 offset:208 ; 4-byte Folded Reload
	buffer_load_dword v2, off, s[24:27], 0 offset:212 ; 4-byte Folded Reload
	buffer_load_dword v3, off, s[24:27], 0 offset:216 ; 4-byte Folded Reload
	s_waitcnt vmcnt(0) lgkmcnt(0)
	v_mul_f64 v[40:41], v[2:3], v[34:35]
	v_fma_f64 v[68:69], v[0:1], v[32:33], v[40:41]
	v_mul_f64 v[32:33], v[2:3], v[32:33]
	v_fma_f64 v[40:41], v[0:1], v[34:35], -v[32:33]
	;; [unrolled: 10-line block ×7, first 2 shown]
	ds_read_b128 v[32:35], v86 offset:57024
	buffer_load_dword v0, off, s[24:27], 0 offset:448 ; 4-byte Folded Reload
	buffer_load_dword v1, off, s[24:27], 0 offset:452 ; 4-byte Folded Reload
	;; [unrolled: 1-line block ×4, first 2 shown]
	s_waitcnt vmcnt(0) lgkmcnt(0)
	v_mul_f64 v[42:43], v[2:3], v[34:35]
	v_fma_f64 v[48:49], v[0:1], v[32:33], v[42:43]
	v_mul_f64 v[32:33], v[2:3], v[32:33]
	v_add_f64 v[42:43], v[36:37], v[68:69]
	v_fma_f64 v[50:51], v[0:1], v[34:35], -v[32:33]
	ds_read_b128 v[32:35], v86
	s_waitcnt lgkmcnt(0)
	v_fma_f64 v[70:71], v[42:43], -0.5, v[32:33]
	v_add_f64 v[42:43], v[38:39], v[40:41]
	v_add_f64 v[32:33], v[32:33], v[36:37]
	v_fma_f64 v[72:73], v[42:43], -0.5, v[34:35]
	v_add_f64 v[34:35], v[34:35], v[38:39]
	v_add_f64 v[38:39], v[38:39], -v[40:41]
	v_add_f64 v[42:43], v[34:35], v[40:41]
	v_add_f64 v[34:35], v[36:37], -v[68:69]
	v_add_f64 v[40:41], v[32:33], v[68:69]
	v_fma_f64 v[36:37], v[38:39], s[2:3], v[70:71]
	v_fma_f64 v[32:33], v[38:39], s[8:9], v[70:71]
	;; [unrolled: 1-line block ×4, first 2 shown]
	ds_read_b128 v[68:71], v86 offset:15552
	ds_read_b128 v[72:75], v86 offset:5184
	;; [unrolled: 1-line block ×3, first 2 shown]
	s_waitcnt lgkmcnt(0)
	s_barrier
	buffer_load_dword v0, off, s[24:27], 0 offset:120 ; 4-byte Folded Reload
	s_waitcnt vmcnt(0)
	ds_write_b128 v0, v[40:43]
	ds_write_b128 v0, v[36:39] offset:768
	ds_write_b128 v0, v[32:35] offset:1536
	v_add_f64 v[32:33], v[60:61], v[64:65]
	v_add_f64 v[36:37], v[72:73], v[60:61]
	v_add_f64 v[40:41], v[62:63], -v[66:67]
	v_add_f64 v[60:61], v[60:61], -v[64:65]
	v_fma_f64 v[38:39], v[32:33], -0.5, v[72:73]
	v_add_f64 v[32:33], v[62:63], v[66:67]
	v_fma_f64 v[42:43], v[32:33], -0.5, v[74:75]
	v_add_f64 v[32:33], v[74:75], v[62:63]
	v_add_f64 v[34:35], v[32:33], v[66:67]
	v_add_f64 v[32:33], v[36:37], v[64:65]
	v_fma_f64 v[36:37], v[40:41], s[2:3], v[38:39]
	v_fma_f64 v[40:41], v[40:41], s[8:9], v[38:39]
	v_fma_f64 v[38:39], v[60:61], s[8:9], v[42:43]
	v_fma_f64 v[42:43], v[60:61], s[2:3], v[42:43]
	ds_write_b128 v116, v[32:35]
	ds_write_b128 v116, v[36:39] offset:768
	ds_write_b128 v116, v[40:43] offset:1536
	v_add_f64 v[32:33], v[52:53], v[56:57]
	v_add_f64 v[36:37], v[76:77], v[52:53]
	v_add_f64 v[40:41], v[54:55], -v[58:59]
	v_add_f64 v[52:53], v[52:53], -v[56:57]
	v_fma_f64 v[38:39], v[32:33], -0.5, v[76:77]
	v_add_f64 v[32:33], v[54:55], v[58:59]
	v_fma_f64 v[42:43], v[32:33], -0.5, v[78:79]
	v_add_f64 v[32:33], v[78:79], v[54:55]
	v_add_f64 v[34:35], v[32:33], v[58:59]
	v_add_f64 v[32:33], v[36:37], v[56:57]
	v_fma_f64 v[36:37], v[40:41], s[2:3], v[38:39]
	v_fma_f64 v[40:41], v[40:41], s[8:9], v[38:39]
	v_fma_f64 v[38:39], v[52:53], s[8:9], v[42:43]
	v_fma_f64 v[42:43], v[52:53], s[2:3], v[42:43]
	;; [unrolled: 17-line block ×3, first 2 shown]
	ds_write_b128 v110, v[32:35]
	ds_write_b128 v110, v[36:39] offset:768
	ds_write_b128 v110, v[40:43] offset:1536
	s_waitcnt lgkmcnt(0)
	s_barrier
	ds_read_b128 v[32:35], v86 offset:20736
	buffer_load_dword v0, off, s[24:27], 0 offset:332 ; 4-byte Folded Reload
	buffer_load_dword v1, off, s[24:27], 0 offset:336 ; 4-byte Folded Reload
	;; [unrolled: 1-line block ×4, first 2 shown]
	ds_read_b128 v[36:39], v86 offset:41472
	s_waitcnt vmcnt(0) lgkmcnt(1)
	v_mul_f64 v[40:41], v[2:3], v[34:35]
	v_mul_f64 v[42:43], v[2:3], v[32:33]
	v_fma_f64 v[40:41], v[0:1], v[32:33], v[40:41]
	v_fma_f64 v[42:43], v[0:1], v[34:35], -v[42:43]
	buffer_load_dword v0, off, s[24:27], 0 offset:316 ; 4-byte Folded Reload
	buffer_load_dword v1, off, s[24:27], 0 offset:320 ; 4-byte Folded Reload
	;; [unrolled: 1-line block ×4, first 2 shown]
	ds_read_b128 v[32:35], v86 offset:25920
	s_waitcnt vmcnt(0) lgkmcnt(1)
	v_mul_f64 v[44:45], v[2:3], v[38:39]
	v_mul_f64 v[46:47], v[2:3], v[36:37]
	v_fma_f64 v[44:45], v[0:1], v[36:37], v[44:45]
	v_fma_f64 v[46:47], v[0:1], v[38:39], -v[46:47]
	buffer_load_dword v0, off, s[24:27], 0 offset:400 ; 4-byte Folded Reload
	buffer_load_dword v1, off, s[24:27], 0 offset:404 ; 4-byte Folded Reload
	;; [unrolled: 1-line block ×4, first 2 shown]
	ds_read_b128 v[36:39], v86 offset:46656
	v_add_f64 v[24:25], v[40:41], v[44:45]
	s_waitcnt vmcnt(0) lgkmcnt(1)
	v_mul_f64 v[48:49], v[2:3], v[34:35]
	v_mul_f64 v[50:51], v[2:3], v[32:33]
	v_fma_f64 v[60:61], v[0:1], v[32:33], v[48:49]
	v_fma_f64 v[62:63], v[0:1], v[34:35], -v[50:51]
	buffer_load_dword v0, off, s[24:27], 0 offset:512 ; 4-byte Folded Reload
	buffer_load_dword v1, off, s[24:27], 0 offset:516 ; 4-byte Folded Reload
	buffer_load_dword v2, off, s[24:27], 0 offset:520 ; 4-byte Folded Reload
	buffer_load_dword v3, off, s[24:27], 0 offset:524 ; 4-byte Folded Reload
	ds_read_b128 v[32:35], v86 offset:31104
	s_waitcnt vmcnt(0) lgkmcnt(1)
	v_mul_f64 v[48:49], v[2:3], v[38:39]
	v_mul_f64 v[50:51], v[2:3], v[36:37]
	v_fma_f64 v[64:65], v[0:1], v[36:37], v[48:49]
	v_fma_f64 v[66:67], v[0:1], v[38:39], -v[50:51]
	buffer_load_dword v0, off, s[24:27], 0 offset:592 ; 4-byte Folded Reload
	buffer_load_dword v1, off, s[24:27], 0 offset:596 ; 4-byte Folded Reload
	buffer_load_dword v2, off, s[24:27], 0 offset:600 ; 4-byte Folded Reload
	buffer_load_dword v3, off, s[24:27], 0 offset:604 ; 4-byte Folded Reload
	ds_read_b128 v[36:39], v86 offset:51840
	;; [unrolled: 10-line block ×4, first 2 shown]
	v_add_f64 v[38:39], v[62:63], -v[66:67]
	s_waitcnt vmcnt(0) lgkmcnt(1)
	v_mul_f64 v[36:37], v[2:3], v[18:19]
	v_mul_f64 v[26:27], v[2:3], v[16:17]
	v_fma_f64 v[52:53], v[0:1], v[16:17], v[36:37]
	v_fma_f64 v[56:57], v[0:1], v[18:19], -v[26:27]
	s_waitcnt lgkmcnt(0)
	v_mul_f64 v[16:17], v[30:31], v[22:23]
	v_mul_f64 v[18:19], v[30:31], v[20:21]
	v_add_f64 v[36:37], v[62:63], v[66:67]
	v_fma_f64 v[54:55], v[28:29], v[20:21], v[16:17]
	v_fma_f64 v[58:59], v[28:29], v[22:23], -v[18:19]
	ds_read_b128 v[16:19], v86
	v_add_f64 v[20:21], v[42:43], v[46:47]
	s_waitcnt lgkmcnt(0)
	v_add_f64 v[22:23], v[16:17], v[40:41]
	v_fma_f64 v[16:17], v[24:25], -0.5, v[16:17]
	v_add_f64 v[24:25], v[42:43], -v[46:47]
	v_add_f64 v[26:27], v[18:19], v[42:43]
	v_fma_f64 v[18:19], v[20:21], -0.5, v[18:19]
	v_add_f64 v[20:21], v[40:41], -v[44:45]
	v_add_f64 v[40:41], v[60:61], -v[64:65]
	v_add_f64 v[48:49], v[22:23], v[44:45]
	v_add_f64 v[22:23], v[60:61], v[64:65]
	v_fma_f64 v[28:29], v[24:25], s[2:3], v[16:17]
	v_add_f64 v[50:51], v[26:27], v[46:47]
	v_fma_f64 v[24:25], v[24:25], s[8:9], v[16:17]
	v_fma_f64 v[30:31], v[20:21], s[8:9], v[18:19]
	;; [unrolled: 1-line block ×3, first 2 shown]
	ds_read_b128 v[16:19], v86 offset:5184
	s_waitcnt lgkmcnt(0)
	v_fma_f64 v[20:21], v[22:23], -0.5, v[16:17]
	v_fma_f64 v[22:23], v[36:37], -0.5, v[18:19]
	v_add_f64 v[16:17], v[16:17], v[60:61]
	v_add_f64 v[18:19], v[18:19], v[62:63]
	v_fma_f64 v[36:37], v[38:39], s[2:3], v[20:21]
	v_fma_f64 v[20:21], v[38:39], s[8:9], v[20:21]
	;; [unrolled: 1-line block ×4, first 2 shown]
	v_add_f64 v[40:41], v[32:33], v[68:69]
	v_add_f64 v[44:45], v[16:17], v[64:65]
	;; [unrolled: 1-line block ×3, first 2 shown]
	ds_read_b128 v[16:19], v86 offset:10368
	v_add_f64 v[66:67], v[56:57], v[58:59]
	s_waitcnt lgkmcnt(0)
	v_fma_f64 v[60:61], v[40:41], -0.5, v[16:17]
	v_add_f64 v[40:41], v[34:35], v[70:71]
	v_add_f64 v[16:17], v[16:17], v[32:33]
	v_fma_f64 v[62:63], v[40:41], -0.5, v[18:19]
	v_add_f64 v[18:19], v[18:19], v[34:35]
	v_add_f64 v[34:35], v[34:35], -v[70:71]
	v_add_f64 v[40:41], v[16:17], v[68:69]
	v_add_f64 v[42:43], v[18:19], v[70:71]
	v_add_f64 v[18:19], v[32:33], -v[68:69]
	v_fma_f64 v[32:33], v[34:35], s[2:3], v[60:61]
	v_fma_f64 v[16:17], v[34:35], s[8:9], v[60:61]
	v_add_f64 v[60:61], v[52:53], v[54:55]
	v_add_f64 v[68:69], v[56:57], -v[58:59]
	v_fma_f64 v[34:35], v[18:19], s[8:9], v[62:63]
	v_fma_f64 v[18:19], v[18:19], s[2:3], v[62:63]
	ds_read_b128 v[62:65], v86 offset:15552
	s_waitcnt lgkmcnt(0)
	s_barrier
	v_fma_f64 v[60:61], v[60:61], -0.5, v[62:63]
	v_add_f64 v[62:63], v[62:63], v[52:53]
	v_fma_f64 v[66:67], v[66:67], -0.5, v[64:65]
	v_add_f64 v[64:65], v[64:65], v[56:57]
	v_add_f64 v[56:57], v[62:63], v[54:55]
	v_add_f64 v[62:63], v[52:53], -v[54:55]
	v_add_f64 v[58:59], v[64:65], v[58:59]
	v_fma_f64 v[52:53], v[68:69], s[2:3], v[60:61]
	v_fma_f64 v[60:61], v[68:69], s[8:9], v[60:61]
	;; [unrolled: 1-line block ×4, first 2 shown]
	ds_write_b128 v90, v[48:51]
	ds_write_b128 v90, v[28:31] offset:2304
	ds_write_b128 v90, v[24:27] offset:4608
	ds_write_b128 v91, v[44:47]
	ds_write_b128 v91, v[36:39] offset:2304
	ds_write_b128 v91, v[20:23] offset:4608
	;; [unrolled: 3-line block ×4, first 2 shown]
	s_waitcnt lgkmcnt(0)
	s_barrier
	ds_read_b128 v[20:23], v86 offset:20736
	ds_read_b128 v[24:27], v86 offset:41472
	;; [unrolled: 1-line block ×5, first 2 shown]
	s_waitcnt lgkmcnt(4)
	v_mul_f64 v[52:53], v[114:115], v[22:23]
	v_mul_f64 v[54:55], v[114:115], v[20:21]
	ds_read_b128 v[36:39], v86 offset:25920
	ds_read_b128 v[40:43], v86 offset:31104
	;; [unrolled: 1-line block ×4, first 2 shown]
	buffer_load_dword v0, off, s[24:27], 0 offset:88 ; 4-byte Folded Reload
	buffer_load_dword v1, off, s[24:27], 0 offset:92 ; 4-byte Folded Reload
	;; [unrolled: 1-line block ×4, first 2 shown]
	s_waitcnt lgkmcnt(7)
	v_mul_f64 v[56:57], v[105:106], v[26:27]
	v_mul_f64 v[58:59], v[105:106], v[24:25]
	s_waitcnt lgkmcnt(1)
	v_mul_f64 v[68:69], v[125:126], v[46:47]
	v_mul_f64 v[70:71], v[125:126], v[44:45]
	v_fma_f64 v[60:61], v[112:113], v[20:21], v[52:53]
	v_fma_f64 v[62:63], v[112:113], v[22:23], -v[54:55]
	ds_read_b128 v[20:23], v86 offset:36288
	ds_read_b128 v[52:55], v86
	buffer_load_dword v4, off, s[24:27], 0 offset:188 ; 4-byte Folded Reload
	buffer_load_dword v5, off, s[24:27], 0 offset:192 ; 4-byte Folded Reload
	;; [unrolled: 1-line block ×4, first 2 shown]
	v_fma_f64 v[56:57], v[103:104], v[24:25], v[56:57]
	v_fma_f64 v[58:59], v[103:104], v[26:27], -v[58:59]
	ds_read_b128 v[24:27], v86 offset:57024
	v_fma_f64 v[44:45], v[123:124], v[44:45], v[68:69]
	v_fma_f64 v[46:47], v[123:124], v[46:47], -v[70:71]
	s_waitcnt vmcnt(4)
	v_mul_f64 v[64:65], v[2:3], v[38:39]
	v_mul_f64 v[66:67], v[2:3], v[36:37]
	v_fma_f64 v[64:65], v[0:1], v[36:37], v[64:65]
	s_waitcnt vmcnt(0)
	v_mul_f64 v[36:37], v[6:7], v[42:43]
	v_mul_f64 v[72:73], v[6:7], v[40:41]
	v_fma_f64 v[66:67], v[0:1], v[38:39], -v[66:67]
	buffer_load_dword v0, off, s[24:27], 0 offset:156 ; 4-byte Folded Reload
	buffer_load_dword v1, off, s[24:27], 0 offset:160 ; 4-byte Folded Reload
	;; [unrolled: 1-line block ×8, first 2 shown]
	s_waitcnt vmcnt(0) lgkmcnt(0)
	s_barrier
	v_fma_f64 v[74:75], v[4:5], v[40:41], v[36:37]
	v_mul_f64 v[40:41], v[119:120], v[26:27]
	v_fma_f64 v[72:73], v[4:5], v[42:43], -v[72:73]
	v_add_f64 v[42:43], v[52:53], v[60:61]
	v_fma_f64 v[78:79], v[117:118], v[24:25], v[40:41]
	v_add_f64 v[40:41], v[54:55], v[62:63]
	v_mul_f64 v[38:39], v[2:3], v[50:51]
	v_mul_f64 v[68:69], v[2:3], v[48:49]
	;; [unrolled: 1-line block ×4, first 2 shown]
	v_fma_f64 v[76:77], v[0:1], v[48:49], v[38:39]
	v_add_f64 v[38:39], v[60:61], v[56:57]
	v_fma_f64 v[50:51], v[0:1], v[50:51], -v[68:69]
	v_fma_f64 v[68:69], v[6:7], v[20:21], v[70:71]
	v_mul_f64 v[20:21], v[119:120], v[24:25]
	v_fma_f64 v[70:71], v[6:7], v[22:23], -v[36:37]
	v_add_f64 v[22:23], v[62:63], v[58:59]
	v_add_f64 v[48:49], v[60:61], -v[56:57]
	v_add_f64 v[60:61], v[64:65], -v[44:45]
	v_fma_f64 v[36:37], v[38:39], -0.5, v[52:53]
	v_add_f64 v[38:39], v[62:63], -v[58:59]
	v_add_f64 v[52:53], v[28:29], v[64:65]
	v_fma_f64 v[62:63], v[117:118], v[26:27], -v[20:21]
	v_add_f64 v[26:27], v[64:65], v[44:45]
	v_add_f64 v[20:21], v[42:43], v[56:57]
	v_fma_f64 v[42:43], v[22:23], -0.5, v[54:55]
	v_add_f64 v[22:23], v[40:41], v[58:59]
	v_add_f64 v[40:41], v[66:67], v[46:47]
	v_add_f64 v[56:57], v[66:67], -v[46:47]
	v_add_f64 v[58:59], v[74:75], v[76:77]
	v_fma_f64 v[24:25], v[38:39], s[2:3], v[36:37]
	v_fma_f64 v[54:55], v[26:27], -0.5, v[28:29]
	v_fma_f64 v[36:37], v[38:39], s[8:9], v[36:37]
	v_fma_f64 v[26:27], v[48:49], s[8:9], v[42:43]
	;; [unrolled: 1-line block ×3, first 2 shown]
	v_add_f64 v[42:43], v[30:31], v[66:67]
	v_fma_f64 v[48:49], v[40:41], -0.5, v[30:31]
	v_add_f64 v[28:29], v[52:53], v[44:45]
	v_add_f64 v[52:53], v[16:17], v[74:75]
	v_fma_f64 v[40:41], v[56:57], s[2:3], v[54:55]
	v_fma_f64 v[58:59], v[58:59], -0.5, v[16:17]
	v_add_f64 v[64:65], v[72:73], -v[50:51]
	v_fma_f64 v[44:45], v[56:57], s[8:9], v[54:55]
	v_add_f64 v[54:55], v[72:73], v[50:51]
	v_add_f64 v[30:31], v[42:43], v[46:47]
	v_fma_f64 v[42:43], v[60:61], s[8:9], v[48:49]
	v_fma_f64 v[46:47], v[60:61], s[2:3], v[48:49]
	v_add_f64 v[60:61], v[18:19], v[72:73]
	v_add_f64 v[16:17], v[52:53], v[76:77]
	v_fma_f64 v[48:49], v[64:65], s[2:3], v[58:59]
	v_fma_f64 v[52:53], v[64:65], s[8:9], v[58:59]
	v_fma_f64 v[54:55], v[54:55], -0.5, v[18:19]
	v_add_f64 v[64:65], v[74:75], -v[76:77]
	v_add_f64 v[56:57], v[68:69], v[78:79]
	v_add_f64 v[58:59], v[70:71], v[62:63]
	;; [unrolled: 1-line block ×4, first 2 shown]
	v_add_f64 v[74:75], v[70:71], -v[62:63]
	v_add_f64 v[70:71], v[34:35], v[70:71]
	v_add_f64 v[68:69], v[68:69], -v[78:79]
	v_fma_f64 v[50:51], v[64:65], s[8:9], v[54:55]
	v_fma_f64 v[54:55], v[64:65], s[2:3], v[54:55]
	ds_write_b128 v86, v[20:23]
	ds_write_b128 v86, v[24:27] offset:6912
	ds_write_b128 v86, v[36:39] offset:13824
	ds_write_b128 v121, v[28:31]
	ds_write_b128 v121, v[40:43] offset:6912
	ds_write_b128 v121, v[44:47] offset:13824
	;; [unrolled: 3-line block ×3, first 2 shown]
	buffer_load_dword v0, off, s[24:27], 0 offset:380 ; 4-byte Folded Reload
	v_fma_f64 v[72:73], v[56:57], -0.5, v[32:33]
	v_fma_f64 v[76:77], v[58:59], -0.5, v[34:35]
	v_add_f64 v[32:33], v[66:67], v[78:79]
	v_add_f64 v[34:35], v[70:71], v[62:63]
	v_fma_f64 v[56:57], v[74:75], s[2:3], v[72:73]
	v_fma_f64 v[58:59], v[68:69], s[8:9], v[76:77]
	;; [unrolled: 1-line block ×4, first 2 shown]
	s_waitcnt vmcnt(0)
	ds_write_b128 v0, v[32:35] offset:41472
	ds_write_b128 v0, v[56:59] offset:48384
	;; [unrolled: 1-line block ×3, first 2 shown]
	s_waitcnt lgkmcnt(0)
	s_barrier
	ds_read_b128 v[16:19], v86 offset:20736
	ds_read_b128 v[20:23], v86 offset:41472
	;; [unrolled: 1-line block ×9, first 2 shown]
	buffer_load_dword v4, off, s[24:27], 0 offset:432 ; 4-byte Folded Reload
	buffer_load_dword v5, off, s[24:27], 0 offset:436 ; 4-byte Folded Reload
	;; [unrolled: 1-line block ×4, first 2 shown]
	ds_read_b128 v[52:55], v86 offset:36288
	buffer_load_dword v0, off, s[24:27], 0 offset:384 ; 4-byte Folded Reload
	buffer_load_dword v1, off, s[24:27], 0 offset:388 ; 4-byte Folded Reload
	;; [unrolled: 1-line block ×4, first 2 shown]
	ds_read_b128 v[56:59], v86
	ds_read_b128 v[60:63], v86 offset:57024
	buffer_load_dword v8, off, s[24:27], 0 offset:496 ; 4-byte Folded Reload
	buffer_load_dword v9, off, s[24:27], 0 offset:500 ; 4-byte Folded Reload
	;; [unrolled: 1-line block ×4, first 2 shown]
	s_waitcnt vmcnt(8) lgkmcnt(11)
	v_mul_f64 v[64:65], v[6:7], v[18:19]
	v_mul_f64 v[66:67], v[6:7], v[16:17]
	s_waitcnt vmcnt(4) lgkmcnt(10)
	v_mul_f64 v[68:69], v[2:3], v[22:23]
	v_mul_f64 v[70:71], v[2:3], v[20:21]
	s_waitcnt vmcnt(0) lgkmcnt(7)
	v_mul_f64 v[72:73], v[10:11], v[34:35]
	v_fma_f64 v[16:17], v[4:5], v[16:17], v[64:65]
	v_fma_f64 v[18:19], v[4:5], v[18:19], -v[66:67]
	v_mul_f64 v[64:65], v[10:11], v[32:33]
	buffer_load_dword v4, off, s[24:27], 0 offset:464 ; 4-byte Folded Reload
	buffer_load_dword v5, off, s[24:27], 0 offset:468 ; 4-byte Folded Reload
	;; [unrolled: 1-line block ×8, first 2 shown]
	v_fma_f64 v[20:21], v[0:1], v[20:21], v[68:69]
	v_fma_f64 v[22:23], v[0:1], v[22:23], -v[70:71]
	buffer_load_dword v0, off, s[24:27], 0 offset:528 ; 4-byte Folded Reload
	buffer_load_dword v1, off, s[24:27], 0 offset:532 ; 4-byte Folded Reload
	;; [unrolled: 1-line block ×4, first 2 shown]
	v_fma_f64 v[32:33], v[8:9], v[32:33], v[72:73]
	v_fma_f64 v[34:35], v[8:9], v[34:35], -v[64:65]
	s_waitcnt vmcnt(8) lgkmcnt(5)
	v_mul_f64 v[66:67], v[6:7], v[42:43]
	v_mul_f64 v[68:69], v[6:7], v[40:41]
	s_waitcnt vmcnt(4)
	v_mul_f64 v[70:71], v[12:13], v[38:39]
	v_mul_f64 v[6:7], v[12:13], v[36:37]
	buffer_load_dword v12, off, s[24:27], 0 offset:576 ; 4-byte Folded Reload
	buffer_load_dword v13, off, s[24:27], 0 offset:580 ; 4-byte Folded Reload
	;; [unrolled: 1-line block ×4, first 2 shown]
	s_waitcnt vmcnt(4) lgkmcnt(4)
	v_mul_f64 v[64:65], v[2:3], v[46:47]
	v_mul_f64 v[2:3], v[2:3], v[44:45]
	v_fma_f64 v[40:41], v[4:5], v[40:41], v[66:67]
	v_fma_f64 v[42:43], v[4:5], v[42:43], -v[68:69]
	v_fma_f64 v[36:37], v[10:11], v[36:37], v[70:71]
	v_fma_f64 v[38:39], v[10:11], v[38:39], -v[6:7]
	buffer_load_dword v8, off, s[24:27], 0 offset:560 ; 4-byte Folded Reload
	buffer_load_dword v9, off, s[24:27], 0 offset:564 ; 4-byte Folded Reload
	buffer_load_dword v10, off, s[24:27], 0 offset:568 ; 4-byte Folded Reload
	buffer_load_dword v11, off, s[24:27], 0 offset:572 ; 4-byte Folded Reload
	v_add_f64 v[6:7], v[16:17], v[20:21]
	v_fma_f64 v[44:45], v[0:1], v[44:45], v[64:65]
	v_fma_f64 v[46:47], v[0:1], v[46:47], -v[2:3]
	s_waitcnt lgkmcnt(1)
	v_fma_f64 v[6:7], v[6:7], -0.5, v[56:57]
	s_waitcnt vmcnt(4)
	v_mul_f64 v[4:5], v[14:15], v[52:53]
	v_mul_f64 v[66:67], v[14:15], v[54:55]
	v_add_f64 v[14:15], v[58:59], v[18:19]
	s_waitcnt vmcnt(0) lgkmcnt(0)
	v_mul_f64 v[0:1], v[10:11], v[62:63]
	v_mul_f64 v[2:3], v[10:11], v[60:61]
	v_add_f64 v[10:11], v[56:57], v[16:17]
	v_fma_f64 v[54:55], v[12:13], v[54:55], -v[4:5]
	v_add_f64 v[4:5], v[18:19], v[22:23]
	v_fma_f64 v[52:53], v[12:13], v[52:53], v[66:67]
	v_add_f64 v[12:13], v[18:19], -v[22:23]
	v_add_f64 v[16:17], v[16:17], -v[20:21]
	v_fma_f64 v[56:57], v[8:9], v[60:61], v[0:1]
	v_fma_f64 v[60:61], v[8:9], v[62:63], -v[2:3]
	v_add_f64 v[0:1], v[10:11], v[20:21]
	v_add_f64 v[10:11], v[32:33], v[40:41]
	v_fma_f64 v[18:19], v[4:5], -0.5, v[58:59]
	v_add_f64 v[2:3], v[14:15], v[22:23]
	v_fma_f64 v[4:5], v[12:13], s[2:3], v[6:7]
	v_fma_f64 v[8:9], v[12:13], s[8:9], v[6:7]
	v_add_f64 v[12:13], v[34:35], v[42:43]
	v_add_f64 v[14:15], v[24:25], v[32:33]
	v_add_f64 v[22:23], v[34:35], -v[42:43]
	v_fma_f64 v[20:21], v[10:11], -0.5, v[24:25]
	v_fma_f64 v[6:7], v[16:17], s[8:9], v[18:19]
	v_add_f64 v[24:25], v[36:37], v[44:45]
	v_fma_f64 v[10:11], v[16:17], s[2:3], v[18:19]
	v_add_f64 v[18:19], v[26:27], v[34:35]
	v_fma_f64 v[26:27], v[12:13], -0.5, v[26:27]
	v_add_f64 v[32:33], v[32:33], -v[40:41]
	v_add_f64 v[34:35], v[28:29], v[36:37]
	v_add_f64 v[12:13], v[14:15], v[40:41]
	v_add_f64 v[58:59], v[38:39], -v[46:47]
	v_fma_f64 v[40:41], v[24:25], -0.5, v[28:29]
	v_fma_f64 v[16:17], v[22:23], s[2:3], v[20:21]
	v_add_f64 v[14:15], v[18:19], v[42:43]
	v_add_f64 v[42:43], v[38:39], v[46:47]
	v_fma_f64 v[20:21], v[22:23], s[8:9], v[20:21]
	v_fma_f64 v[18:19], v[32:33], s[8:9], v[26:27]
	;; [unrolled: 1-line block ×3, first 2 shown]
	v_add_f64 v[24:25], v[34:35], v[44:45]
	v_add_f64 v[26:27], v[52:53], v[56:57]
	;; [unrolled: 1-line block ×4, first 2 shown]
	v_fma_f64 v[28:29], v[58:59], s[2:3], v[40:41]
	v_fma_f64 v[32:33], v[58:59], s[8:9], v[40:41]
	v_fma_f64 v[40:41], v[42:43], -0.5, v[30:31]
	v_add_f64 v[36:37], v[36:37], -v[44:45]
	v_add_f64 v[42:43], v[48:49], v[52:53]
	v_fma_f64 v[44:45], v[26:27], -0.5, v[48:49]
	v_add_f64 v[48:49], v[54:55], -v[60:61]
	v_add_f64 v[54:55], v[50:51], v[54:55]
	v_fma_f64 v[50:51], v[34:35], -0.5, v[50:51]
	v_add_f64 v[52:53], v[52:53], -v[56:57]
	v_add_f64 v[26:27], v[38:39], v[46:47]
	v_fma_f64 v[30:31], v[36:37], s[8:9], v[40:41]
	v_fma_f64 v[34:35], v[36:37], s[2:3], v[40:41]
	v_add_f64 v[36:37], v[42:43], v[56:57]
	v_fma_f64 v[40:41], v[48:49], s[2:3], v[44:45]
	v_fma_f64 v[44:45], v[48:49], s[8:9], v[44:45]
	v_add_f64 v[38:39], v[54:55], v[60:61]
	v_fma_f64 v[42:43], v[52:53], s[8:9], v[50:51]
	v_fma_f64 v[46:47], v[52:53], s[2:3], v[50:51]
	ds_write_b128 v86, v[0:3]
	ds_write_b128 v86, v[4:7] offset:20736
	ds_write_b128 v86, v[8:11] offset:41472
	;; [unrolled: 1-line block ×11, first 2 shown]
	s_waitcnt lgkmcnt(0)
	s_barrier
	s_and_b64 exec, exec, s[0:1]
	s_cbranch_execz .LBB0_15
; %bb.14:
	v_mov_b32_e32 v8, s15
	v_add_co_u32_e32 v40, vcc, s14, v85
	s_movk_i32 s0, 0x1000
	v_addc_co_u32_e32 v41, vcc, 0, v8, vcc
	v_add_co_u32_e32 v8, vcc, s0, v40
	v_addc_co_u32_e32 v9, vcc, 0, v41, vcc
	s_movk_i32 s0, 0x2000
	v_add_co_u32_e32 v12, vcc, s0, v40
	v_addc_co_u32_e32 v13, vcc, 0, v41, vcc
	global_load_dwordx4 v[0:3], v85, s[14:15]
	global_load_dwordx4 v[4:7], v85, s[14:15] offset:3888
	v_mad_u64_u32 v[38:39], s[2:3], s4, v84, 0
	global_load_dwordx4 v[8:11], v[8:9], off offset:3680
	s_mul_i32 s2, s4, 0xf30
	global_load_dwordx4 v[12:15], v[12:13], off offset:3472
	s_nop 0
	buffer_load_dword v67, off, s[24:27], 0 ; 4-byte Folded Reload
	buffer_load_dword v68, off, s[24:27], 0 offset:4 ; 4-byte Folded Reload
	ds_read_b128 v[20:23], v85 offset:3888
	ds_read_b128 v[16:19], v85 offset:7776
	s_movk_i32 s8, 0x5000
	s_movk_i32 s9, 0x6000
	;; [unrolled: 1-line block ×3, first 2 shown]
	s_mul_i32 s3, s5, 0xf30
	v_mov_b32_e32 v42, s13
	s_waitcnt vmcnt(1)
	v_mad_u64_u32 v[36:37], s[0:1], s6, v67, 0
	s_mul_hi_u32 s6, s4, 0xf30
	s_movk_i32 s4, 0x3000
	v_add_co_u32_e32 v24, vcc, s4, v40
	v_addc_co_u32_e32 v25, vcc, 0, v41, vcc
	global_load_dwordx4 v[24:27], v[24:25], off offset:3264
	s_movk_i32 s4, 0x4000
	v_add_co_u32_e32 v51, vcc, s4, v40
	v_addc_co_u32_e32 v52, vcc, 0, v41, vcc
	v_add_co_u32_e32 v55, vcc, s8, v40
	v_addc_co_u32_e32 v56, vcc, 0, v41, vcc
	v_add_co_u32_e32 v59, vcc, s9, v40
	v_addc_co_u32_e32 v60, vcc, 0, v41, vcc
	v_add_co_u32_e32 v63, vcc, s10, v40
	v_addc_co_u32_e32 v64, vcc, 0, v41, vcc
	ds_read_b128 v[32:35], v85 offset:11664
	ds_read_b128 v[28:31], v85 offset:19440
	ds_read_b128 v[43:46], v86
	ds_read_b128 v[47:50], v86 offset:46656
	global_load_dwordx4 v[51:54], v[51:52], off offset:3056
	s_nop 0
	global_load_dwordx4 v[55:58], v[55:56], off offset:2848
	s_nop 0
	;; [unrolled: 2-line block ×3, first 2 shown]
	global_load_dwordx4 v[63:66], v[63:64], off offset:2432
	s_add_i32 s3, s6, s3
	s_waitcnt vmcnt(5)
	v_mad_u64_u32 v[67:68], s[6:7], s7, v67, v[37:38]
	v_mad_u64_u32 v[68:69], s[4:5], s5, v84, v[39:40]
	s_waitcnt lgkmcnt(1)
	v_mul_f64 v[69:70], v[45:46], v[2:3]
	v_mul_f64 v[2:3], v[43:44], v[2:3]
	v_mov_b32_e32 v37, v67
	v_mov_b32_e32 v39, v68
	v_mul_f64 v[67:68], v[22:23], v[6:7]
	v_mul_f64 v[6:7], v[20:21], v[6:7]
	v_lshlrev_b64 v[36:37], 4, v[36:37]
	v_lshlrev_b64 v[38:39], 4, v[38:39]
	v_fma_f64 v[43:44], v[43:44], v[0:1], v[69:70]
	v_fma_f64 v[2:3], v[0:1], v[45:46], -v[2:3]
	v_add_co_u32_e32 v45, vcc, s12, v36
	v_addc_co_u32_e32 v42, vcc, v42, v37, vcc
	v_mul_f64 v[36:37], v[18:19], v[10:11]
	v_fma_f64 v[6:7], v[4:5], v[22:23], -v[6:7]
	v_add_co_u32_e32 v22, vcc, v45, v38
	v_addc_co_u32_e32 v23, vcc, v42, v39, vcc
	v_mul_f64 v[38:39], v[34:35], v[14:15]
	v_mul_f64 v[14:15], v[32:33], v[14:15]
	v_fma_f64 v[20:21], v[20:21], v[4:5], v[67:68]
	v_mul_f64 v[10:11], v[16:17], v[10:11]
	s_mov_b32 s0, 0xa88f4696
	s_mov_b32 s1, 0x3f30db20
	v_mov_b32_e32 v71, s3
	v_fma_f64 v[16:17], v[16:17], v[8:9], v[36:37]
	v_add_co_u32_e32 v36, vcc, s2, v22
	v_mul_f64 v[0:1], v[43:44], s[0:1]
	v_mul_f64 v[2:3], v[2:3], s[0:1]
	v_addc_co_u32_e32 v37, vcc, v23, v71, vcc
	s_mov_b32 s4, 0x8000
	v_fma_f64 v[32:33], v[32:33], v[12:13], v[38:39]
	v_fma_f64 v[34:35], v[12:13], v[34:35], -v[14:15]
	v_add_co_u32_e32 v12, vcc, s4, v40
	v_addc_co_u32_e32 v13, vcc, 0, v41, vcc
	v_mul_f64 v[4:5], v[20:21], s[0:1]
	v_mul_f64 v[6:7], v[6:7], s[0:1]
	global_load_dwordx4 v[12:15], v[12:13], off offset:2224
	v_fma_f64 v[8:9], v[8:9], v[18:19], -v[10:11]
	s_mov_b32 s4, 0x9000
	global_store_dwordx4 v[22:23], v[0:3], off
	v_mov_b32_e32 v42, s3
	v_mul_f64 v[0:1], v[16:17], s[0:1]
	v_add_co_u32_e32 v16, vcc, s4, v40
	v_addc_co_u32_e32 v17, vcc, 0, v41, vcc
	s_mov_b32 s4, 0xa000
	v_add_co_u32_e32 v20, vcc, s4, v40
	global_store_dwordx4 v[36:37], v[4:7], off
	v_addc_co_u32_e32 v21, vcc, 0, v41, vcc
	v_mul_f64 v[2:3], v[8:9], s[0:1]
	ds_read_b128 v[4:7], v86 offset:15552
	ds_read_b128 v[8:11], v86 offset:31104
	global_load_dwordx4 v[16:19], v[16:17], off offset:2016
	s_nop 0
	global_load_dwordx4 v[20:23], v[20:21], off offset:1808
	v_add_co_u32_e32 v36, vcc, s2, v36
	s_waitcnt vmcnt(9) lgkmcnt(1)
	v_mul_f64 v[38:39], v[6:7], v[26:27]
	v_mul_f64 v[26:27], v[4:5], v[26:27]
	v_addc_co_u32_e32 v37, vcc, v37, v42, vcc
	global_store_dwordx4 v[36:37], v[0:3], off
	s_mov_b32 s4, 0xb000
	v_mul_f64 v[0:1], v[32:33], s[0:1]
	v_mul_f64 v[2:3], v[34:35], s[0:1]
	v_fma_f64 v[4:5], v[4:5], v[24:25], v[38:39]
	v_fma_f64 v[6:7], v[24:25], v[6:7], -v[26:27]
	s_waitcnt vmcnt(9)
	v_mul_f64 v[24:25], v[30:31], v[53:54]
	v_mul_f64 v[26:27], v[28:29], v[53:54]
	v_mov_b32_e32 v33, s3
	v_add_co_u32_e32 v32, vcc, s2, v36
	v_addc_co_u32_e32 v33, vcc, v37, v33, vcc
	global_store_dwordx4 v[32:33], v[0:3], off
	v_fma_f64 v[28:29], v[28:29], v[51:52], v[24:25]
	v_mul_f64 v[0:1], v[4:5], s[0:1]
	v_mul_f64 v[2:3], v[6:7], s[0:1]
	ds_read_b128 v[4:7], v85 offset:23328
	v_fma_f64 v[30:31], v[51:52], v[30:31], -v[26:27]
	ds_read_b128 v[24:27], v85 offset:27216
	v_mov_b32_e32 v38, s3
	v_add_co_u32_e32 v32, vcc, s2, v32
	s_waitcnt vmcnt(9) lgkmcnt(1)
	v_mul_f64 v[34:35], v[6:7], v[57:58]
	v_mul_f64 v[36:37], v[4:5], v[57:58]
	v_addc_co_u32_e32 v33, vcc, v33, v38, vcc
	global_store_dwordx4 v[32:33], v[0:3], off
	v_add_co_u32_e32 v32, vcc, s2, v32
	v_mul_f64 v[0:1], v[28:29], s[0:1]
	v_mul_f64 v[2:3], v[30:31], s[0:1]
	v_fma_f64 v[4:5], v[4:5], v[55:56], v[34:35]
	v_fma_f64 v[6:7], v[55:56], v[6:7], -v[36:37]
	s_waitcnt vmcnt(9) lgkmcnt(0)
	v_mul_f64 v[28:29], v[26:27], v[61:62]
	v_mul_f64 v[30:31], v[24:25], v[61:62]
	v_addc_co_u32_e32 v33, vcc, v33, v38, vcc
	v_mov_b32_e32 v34, s3
	global_store_dwordx4 v[32:33], v[0:3], off
	s_nop 0
	v_mul_f64 v[0:1], v[4:5], s[0:1]
	v_mul_f64 v[2:3], v[6:7], s[0:1]
	v_fma_f64 v[4:5], v[24:25], v[59:60], v[28:29]
	v_fma_f64 v[6:7], v[59:60], v[26:27], -v[30:31]
	s_waitcnt vmcnt(9)
	v_mul_f64 v[24:25], v[10:11], v[65:66]
	v_mul_f64 v[26:27], v[8:9], v[65:66]
	v_add_co_u32_e32 v28, vcc, s2, v32
	v_addc_co_u32_e32 v29, vcc, v33, v34, vcc
	global_store_dwordx4 v[28:29], v[0:3], off
	v_mov_b32_e32 v30, s3
	v_mul_f64 v[0:1], v[4:5], s[0:1]
	v_mul_f64 v[2:3], v[6:7], s[0:1]
	v_fma_f64 v[8:9], v[8:9], v[63:64], v[24:25]
	ds_read_b128 v[4:7], v85 offset:34992
	v_fma_f64 v[24:25], v[63:64], v[10:11], -v[26:27]
	v_add_co_u32_e32 v26, vcc, s2, v28
	v_addc_co_u32_e32 v27, vcc, v29, v30, vcc
	global_store_dwordx4 v[26:27], v[0:3], off
	v_add_co_u32_e32 v30, vcc, s2, v26
	v_mul_f64 v[0:1], v[8:9], s[0:1]
	ds_read_b128 v[8:11], v85 offset:38880
	s_waitcnt vmcnt(10) lgkmcnt(1)
	v_mul_f64 v[28:29], v[6:7], v[14:15]
	v_mul_f64 v[14:15], v[4:5], v[14:15]
	;; [unrolled: 1-line block ×3, first 2 shown]
	v_mov_b32_e32 v24, s3
	v_addc_co_u32_e32 v31, vcc, v27, v24, vcc
	ds_read_b128 v[24:27], v85 offset:42768
	v_fma_f64 v[28:29], v[4:5], v[12:13], v[28:29]
	v_fma_f64 v[12:13], v[12:13], v[6:7], -v[14:15]
	ds_read_b128 v[4:7], v85 offset:50544
	s_waitcnt vmcnt(7) lgkmcnt(2)
	v_mul_f64 v[14:15], v[10:11], v[18:19]
	v_mul_f64 v[18:19], v[8:9], v[18:19]
	s_waitcnt vmcnt(6) lgkmcnt(1)
	v_mul_f64 v[32:33], v[26:27], v[22:23]
	v_mul_f64 v[22:23], v[24:25], v[22:23]
	global_store_dwordx4 v[30:31], v[0:3], off
	v_fma_f64 v[8:9], v[8:9], v[16:17], v[14:15]
	v_mul_f64 v[0:1], v[28:29], s[0:1]
	v_mul_f64 v[2:3], v[12:13], s[0:1]
	v_fma_f64 v[10:11], v[16:17], v[10:11], -v[18:19]
	v_fma_f64 v[12:13], v[24:25], v[20:21], v[32:33]
	v_fma_f64 v[14:15], v[20:21], v[26:27], -v[22:23]
	v_mov_b32_e32 v28, s3
	v_add_co_u32_e32 v16, vcc, s2, v30
	v_addc_co_u32_e32 v17, vcc, v31, v28, vcc
	global_store_dwordx4 v[16:17], v[0:3], off
	v_mov_b32_e32 v18, s3
	v_mul_f64 v[0:1], v[8:9], s[0:1]
	v_mul_f64 v[2:3], v[10:11], s[0:1]
	;; [unrolled: 1-line block ×4, first 2 shown]
	v_add_co_u32_e32 v12, vcc, s2, v16
	v_addc_co_u32_e32 v13, vcc, v17, v18, vcc
	global_store_dwordx4 v[12:13], v[0:3], off
	s_nop 0
	v_mov_b32_e32 v0, s3
	v_add_co_u32_e32 v12, vcc, s2, v12
	v_addc_co_u32_e32 v13, vcc, v13, v0, vcc
	v_add_co_u32_e32 v0, vcc, s4, v40
	global_store_dwordx4 v[12:13], v[8:11], off
	v_addc_co_u32_e32 v1, vcc, 0, v41, vcc
	global_load_dwordx4 v[0:3], v[0:1], off offset:1600
	s_mov_b32 s4, 0xc000
	s_waitcnt vmcnt(0)
	v_mul_f64 v[8:9], v[49:50], v[2:3]
	v_mul_f64 v[2:3], v[47:48], v[2:3]
	v_fma_f64 v[8:9], v[47:48], v[0:1], v[8:9]
	v_fma_f64 v[2:3], v[0:1], v[49:50], -v[2:3]
	v_mul_f64 v[0:1], v[8:9], s[0:1]
	v_mul_f64 v[2:3], v[2:3], s[0:1]
	v_mov_b32_e32 v9, s3
	v_add_co_u32_e32 v8, vcc, s2, v12
	v_addc_co_u32_e32 v9, vcc, v13, v9, vcc
	global_store_dwordx4 v[8:9], v[0:3], off
	s_nop 0
	v_add_co_u32_e32 v0, vcc, s4, v40
	v_addc_co_u32_e32 v1, vcc, 0, v41, vcc
	global_load_dwordx4 v[0:3], v[0:1], off offset:1392
	s_mov_b32 s4, 0xd000
	s_waitcnt vmcnt(0) lgkmcnt(0)
	v_mul_f64 v[10:11], v[6:7], v[2:3]
	v_mul_f64 v[2:3], v[4:5], v[2:3]
	v_fma_f64 v[4:5], v[4:5], v[0:1], v[10:11]
	v_fma_f64 v[2:3], v[0:1], v[6:7], -v[2:3]
	v_mov_b32_e32 v6, s3
	v_mul_f64 v[0:1], v[4:5], s[0:1]
	v_mul_f64 v[2:3], v[2:3], s[0:1]
	v_add_co_u32_e32 v4, vcc, s4, v40
	v_addc_co_u32_e32 v5, vcc, 0, v41, vcc
	v_add_co_u32_e32 v12, vcc, s2, v8
	v_addc_co_u32_e32 v13, vcc, v9, v6, vcc
	global_store_dwordx4 v[12:13], v[0:3], off
	global_load_dwordx4 v[0:3], v[4:5], off offset:1184
	ds_read_b128 v[4:7], v85 offset:54432
	ds_read_b128 v[8:11], v85 offset:58320
	s_mov_b32 s4, 0xe000
	s_waitcnt vmcnt(0) lgkmcnt(1)
	v_mul_f64 v[14:15], v[6:7], v[2:3]
	v_mul_f64 v[2:3], v[4:5], v[2:3]
	v_fma_f64 v[4:5], v[4:5], v[0:1], v[14:15]
	v_fma_f64 v[2:3], v[0:1], v[6:7], -v[2:3]
	v_mov_b32_e32 v7, s3
	v_mul_f64 v[0:1], v[4:5], s[0:1]
	v_mul_f64 v[2:3], v[2:3], s[0:1]
	v_add_co_u32_e32 v4, vcc, s4, v40
	v_addc_co_u32_e32 v5, vcc, 0, v41, vcc
	v_add_co_u32_e32 v6, vcc, s2, v12
	v_addc_co_u32_e32 v7, vcc, v13, v7, vcc
	global_store_dwordx4 v[6:7], v[0:3], off
	global_load_dwordx4 v[0:3], v[4:5], off offset:976
	s_waitcnt vmcnt(0) lgkmcnt(0)
	v_mul_f64 v[4:5], v[10:11], v[2:3]
	v_mul_f64 v[2:3], v[8:9], v[2:3]
	v_fma_f64 v[4:5], v[8:9], v[0:1], v[4:5]
	v_fma_f64 v[2:3], v[0:1], v[10:11], -v[2:3]
	v_mul_f64 v[0:1], v[4:5], s[0:1]
	v_mul_f64 v[2:3], v[2:3], s[0:1]
	v_mov_b32_e32 v5, s3
	v_add_co_u32_e32 v4, vcc, s2, v6
	v_addc_co_u32_e32 v5, vcc, v7, v5, vcc
	global_store_dwordx4 v[4:5], v[0:3], off
.LBB0_15:
	s_endpgm
	.section	.rodata,"a",@progbits
	.p2align	6, 0x0
	.amdhsa_kernel bluestein_single_back_len3888_dim1_dp_op_CI_CI
		.amdhsa_group_segment_fixed_size 62208
		.amdhsa_private_segment_fixed_size 644
		.amdhsa_kernarg_size 104
		.amdhsa_user_sgpr_count 6
		.amdhsa_user_sgpr_private_segment_buffer 1
		.amdhsa_user_sgpr_dispatch_ptr 0
		.amdhsa_user_sgpr_queue_ptr 0
		.amdhsa_user_sgpr_kernarg_segment_ptr 1
		.amdhsa_user_sgpr_dispatch_id 0
		.amdhsa_user_sgpr_flat_scratch_init 0
		.amdhsa_user_sgpr_private_segment_size 0
		.amdhsa_uses_dynamic_stack 0
		.amdhsa_system_sgpr_private_segment_wavefront_offset 1
		.amdhsa_system_sgpr_workgroup_id_x 1
		.amdhsa_system_sgpr_workgroup_id_y 0
		.amdhsa_system_sgpr_workgroup_id_z 0
		.amdhsa_system_sgpr_workgroup_info 0
		.amdhsa_system_vgpr_workitem_id 0
		.amdhsa_next_free_vgpr 128
		.amdhsa_next_free_sgpr 28
		.amdhsa_reserve_vcc 1
		.amdhsa_reserve_flat_scratch 0
		.amdhsa_float_round_mode_32 0
		.amdhsa_float_round_mode_16_64 0
		.amdhsa_float_denorm_mode_32 3
		.amdhsa_float_denorm_mode_16_64 3
		.amdhsa_dx10_clamp 1
		.amdhsa_ieee_mode 1
		.amdhsa_fp16_overflow 0
		.amdhsa_exception_fp_ieee_invalid_op 0
		.amdhsa_exception_fp_denorm_src 0
		.amdhsa_exception_fp_ieee_div_zero 0
		.amdhsa_exception_fp_ieee_overflow 0
		.amdhsa_exception_fp_ieee_underflow 0
		.amdhsa_exception_fp_ieee_inexact 0
		.amdhsa_exception_int_div_zero 0
	.end_amdhsa_kernel
	.text
.Lfunc_end0:
	.size	bluestein_single_back_len3888_dim1_dp_op_CI_CI, .Lfunc_end0-bluestein_single_back_len3888_dim1_dp_op_CI_CI
                                        ; -- End function
	.section	.AMDGPU.csdata,"",@progbits
; Kernel info:
; codeLenInByte = 21852
; NumSgprs: 32
; NumVgprs: 128
; ScratchSize: 644
; MemoryBound: 0
; FloatMode: 240
; IeeeMode: 1
; LDSByteSize: 62208 bytes/workgroup (compile time only)
; SGPRBlocks: 3
; VGPRBlocks: 31
; NumSGPRsForWavesPerEU: 32
; NumVGPRsForWavesPerEU: 128
; Occupancy: 2
; WaveLimiterHint : 1
; COMPUTE_PGM_RSRC2:SCRATCH_EN: 1
; COMPUTE_PGM_RSRC2:USER_SGPR: 6
; COMPUTE_PGM_RSRC2:TRAP_HANDLER: 0
; COMPUTE_PGM_RSRC2:TGID_X_EN: 1
; COMPUTE_PGM_RSRC2:TGID_Y_EN: 0
; COMPUTE_PGM_RSRC2:TGID_Z_EN: 0
; COMPUTE_PGM_RSRC2:TIDIG_COMP_CNT: 0
	.type	__hip_cuid_61fe21be971924cd,@object ; @__hip_cuid_61fe21be971924cd
	.section	.bss,"aw",@nobits
	.globl	__hip_cuid_61fe21be971924cd
__hip_cuid_61fe21be971924cd:
	.byte	0                               ; 0x0
	.size	__hip_cuid_61fe21be971924cd, 1

	.ident	"AMD clang version 19.0.0git (https://github.com/RadeonOpenCompute/llvm-project roc-6.4.0 25133 c7fe45cf4b819c5991fe208aaa96edf142730f1d)"
	.section	".note.GNU-stack","",@progbits
	.addrsig
	.addrsig_sym __hip_cuid_61fe21be971924cd
	.amdgpu_metadata
---
amdhsa.kernels:
  - .args:
      - .actual_access:  read_only
        .address_space:  global
        .offset:         0
        .size:           8
        .value_kind:     global_buffer
      - .actual_access:  read_only
        .address_space:  global
        .offset:         8
        .size:           8
        .value_kind:     global_buffer
      - .actual_access:  read_only
        .address_space:  global
        .offset:         16
        .size:           8
        .value_kind:     global_buffer
      - .actual_access:  read_only
        .address_space:  global
        .offset:         24
        .size:           8
        .value_kind:     global_buffer
      - .actual_access:  read_only
        .address_space:  global
        .offset:         32
        .size:           8
        .value_kind:     global_buffer
      - .offset:         40
        .size:           8
        .value_kind:     by_value
      - .address_space:  global
        .offset:         48
        .size:           8
        .value_kind:     global_buffer
      - .address_space:  global
        .offset:         56
        .size:           8
        .value_kind:     global_buffer
      - .address_space:  global
        .offset:         64
        .size:           8
        .value_kind:     global_buffer
      - .address_space:  global
        .offset:         72
        .size:           8
        .value_kind:     global_buffer
      - .offset:         80
        .size:           4
        .value_kind:     by_value
      - .address_space:  global
        .offset:         88
        .size:           8
        .value_kind:     global_buffer
      - .address_space:  global
        .offset:         96
        .size:           8
        .value_kind:     global_buffer
    .group_segment_fixed_size: 62208
    .kernarg_segment_align: 8
    .kernarg_segment_size: 104
    .language:       OpenCL C
    .language_version:
      - 2
      - 0
    .max_flat_workgroup_size: 324
    .name:           bluestein_single_back_len3888_dim1_dp_op_CI_CI
    .private_segment_fixed_size: 644
    .sgpr_count:     32
    .sgpr_spill_count: 0
    .symbol:         bluestein_single_back_len3888_dim1_dp_op_CI_CI.kd
    .uniform_work_group_size: 1
    .uses_dynamic_stack: false
    .vgpr_count:     128
    .vgpr_spill_count: 179
    .wavefront_size: 64
amdhsa.target:   amdgcn-amd-amdhsa--gfx906
amdhsa.version:
  - 1
  - 2
...

	.end_amdgpu_metadata
